;; amdgpu-corpus repo=ROCm/aiter kind=harvested arch=n/a opt=n/a

/root/src/amdgpu-assembly/repos/ROCm__aiter/hsa/gfx950/fmoe_2stages/fmoe_stage1_bf16_pertokenFp8_doweight_g1u1_32x512_pf2.co:	file format elf64-amdgpu

Disassembly of section .text:

0000000000002a00 <_ZN5aiter53fmoe_stage1_bf16_pertokenFp8_doweight_g1u1_32x512_pf2E>:
	s_and_b32 s1, s1, 0xffff                                   // 000000002A00: 8601FF01 0000FFFF
	s_load_dwordx2 s[8:9], s[0:1], 0x0                         // 000000002A08: C0060200 00000000
	s_load_dwordx2 s[20:21], s[0:1], 0x10                      // 000000002A10: C0060500 00000010
	s_load_dwordx2 s[24:25], s[0:1], 0x20                      // 000000002A18: C0060600 00000020
	s_load_dwordx2 s[48:49], s[0:1], 0x30                      // 000000002A20: C0060C00 00000030
	s_load_dwordx2 s[28:29], s[0:1], 0x40                      // 000000002A28: C0060700 00000040
	s_load_dwordx2 s[32:33], s[0:1], 0x50                      // 000000002A30: C0060800 00000050
	s_load_dwordx2 s[36:37], s[0:1], 0x60                      // 000000002A38: C0060900 00000060
	s_load_dwordx2 s[12:13], s[0:1], 0x70                      // 000000002A40: C0060300 00000070
	s_load_dwordx2 s[44:45], s[0:1], 0x80                      // 000000002A48: C0060B00 00000080
	s_mov_b32 s89, 0                                           // 000000002A50: BED90080
	s_load_dword s64, s[0:1], 0x90                             // 000000002A54: C0021000 00000090
	s_load_dword s65, s[0:1], 0xa0                             // 000000002A5C: C0021040 000000A0
	s_load_dword s66, s[0:1], 0xb0                             // 000000002A64: C0021080 000000B0
	s_load_dword s67, s[0:1], 0xc0                             // 000000002A6C: C00210C0 000000C0
	s_load_dword s68, s[0:1], 0xd0                             // 000000002A74: C0021100 000000D0
	s_load_dword s69, s[0:1], 0xe0                             // 000000002A7C: C0021140 000000E0
	s_load_dword s71, s[0:1], 0xf0                             // 000000002A84: C00211C0 000000F0
	s_load_dword s72, s[0:1], 0x100                            // 000000002A8C: C0021200 00000100
	s_load_dword s74, s[0:1], 0x110                            // 000000002A94: C0021280 00000110
	s_load_dword s76, s[0:1], 0x120                            // 000000002A9C: C0021300 00000120
	s_load_dword s56, s[0:1], 0x130                            // 000000002AA4: C0020E00 00000130
	s_load_dword s88, s[0:1], 0x140                            // 000000002AAC: C0021600 00000140
	s_load_dword s89, s[0:1], 0x150                            // 000000002AB4: C0021640 00000150
	s_load_dwordx2 s[40:41], s[0:1], 0x160                     // 000000002ABC: C0060A00 00000160
	v_lshrrev_b32_e32 v1, 10, v0                               // 000000002AC4: 2002008A
	v_lshrrev_b32_e32 v2, 10, v1                               // 000000002AC8: 2004028A
	v_and_b32_e32 v2, 0x3ff, v2                                // 000000002ACC: 260404FF 000003FF
	v_and_b32_e32 v1, 0x3ff, v1                                // 000000002AD4: 260202FF 000003FF
	v_and_b32_e32 v0, 0x3ff, v0                                // 000000002ADC: 260000FF 000003FF
	v_lshrrev_b32_e32 v3, 6, v0                                // 000000002AE4: 20060086
	v_and_b32_e32 v0, 63, v0                                   // 000000002AE8: 260000BF
	s_mov_b32 s2, s2                                           // 000000002AEC: BE820002
	s_mov_b32 s3, s3                                           // 000000002AF0: BE830003
	s_mov_b32 s4, s4                                           // 000000002AF4: BE840004
	v_readfirstlane_b32 s7, v3                                 // 000000002AF8: 7E0E0503
	s_waitcnt lgkmcnt(0)                                       // 000000002AFC: BF8CC07F
	s_and_b32 s49, s49, 0xffff                                 // 000000002B00: 8631FF31 0000FFFF
	s_load_dword s48, s[48:49], 0x0                            // 000000002B08: C0020C18 00000000
	s_and_b32 s45, s45, 0xffff                                 // 000000002B10: 862DFF2D 0000FFFF
	s_and_b32 s9, s9, 0xffff                                   // 000000002B18: 8609FF09 0000FFFF
	s_mul_i32 s60, s66, s68                                    // 000000002B20: 923C4442
	s_mul_i32 s61, s66, 4                                      // 000000002B24: 923D8442
	s_mov_b32 s22, s60                                         // 000000002B28: BE96003C
	s_mov_b32 s26, -16                                         // 000000002B2C: BE9A00D0
	s_mov_b32 s30, s61                                         // 000000002B30: BE9E003D
	s_mov_b32 s14, 0x80                                        // 000000002B34: BE8E00FF 00000080
	s_mov_b32 s38, -16                                         // 000000002B3C: BEA600D0
	s_mov_b32 s10, -16                                         // 000000002B40: BE8A00D0
	s_mov_b32 s34, 0x800                                       // 000000002B44: BEA200FF 00000800
	s_mov_b32 s23, 0x20000                                     // 000000002B4C: BE9700FF 00020000
	s_mov_b32 s27, 0x20000                                     // 000000002B54: BE9B00FF 00020000
	s_mov_b32 s31, 0x20000                                     // 000000002B5C: BE9F00FF 00020000
	s_mov_b32 s35, 0x20000                                     // 000000002B64: BEA300FF 00020000
	s_mov_b32 s15, 0x20000                                     // 000000002B6C: BE8F00FF 00020000
	s_mov_b32 s39, 0x20000                                     // 000000002B74: BEA700FF 00020000
	s_mov_b32 s11, 0x20000                                     // 000000002B7C: BE8B00FF 00020000
	s_and_b32 s21, s21, 0xffff                                 // 000000002B84: 8615FF15 0000FFFF
	s_and_b32 s25, s25, 0xffff                                 // 000000002B8C: 8619FF19 0000FFFF
	s_and_b32 s29, s29, 0xffff                                 // 000000002B94: 861DFF1D 0000FFFF
	s_and_b32 s33, s33, 0xffff                                 // 000000002B9C: 8621FF21 0000FFFF
	s_and_b32 s13, s13, 0xffff                                 // 000000002BA4: 860DFF0D 0000FFFF
	s_and_b32 s37, s37, 0xffff                                 // 000000002BAC: 8625FF25 0000FFFF
	s_or_b32 s21, s21, 0x40000                                 // 000000002BB4: 8715FF15 00040000
	s_or_b32 s25, s25, 0x40000                                 // 000000002BBC: 8719FF19 00040000
	s_or_b32 s29, s29, 0x40000                                 // 000000002BC4: 871DFF1D 00040000
	s_or_b32 s33, s33, 0x40000                                 // 000000002BCC: 8721FF21 00040000
	s_or_b32 s13, s13, 0x40000                                 // 000000002BD4: 870DFF0D 00040000
	s_or_b32 s37, s37, 0x40000                                 // 000000002BDC: 8725FF25 00040000
	s_mov_b32 s42, -16                                         // 000000002BE4: BEAA00D0
	s_mov_b32 s43, 0x20000                                     // 000000002BE8: BEAB00FF 00020000
	s_and_b32 s41, s41, 0xffff                                 // 000000002BF0: 8629FF29 0000FFFF
	s_or_b32 s41, s41, 0x40000                                 // 000000002BF8: 8729FF29 00040000
	v_accvgpr_write_b32 a159, 0                                // 000000002C00: D3D9409F 18000080
	v_mov_b32_e32 v181, 0                                      // 000000002C08: 7F6A0280
	s_waitcnt lgkmcnt(0)                                       // 000000002C0C: BF8CC07F
	s_mul_i32 s60, s3, 32                                      // 000000002C10: 923CA003
	s_cmp_lt_i32 s60, s48                                      // 000000002C14: BF04303C
	s_cbranch_scc0 label_2280                                  // 000000002C18: BF8421F6
	s_mov_b32 s80, 0                                           // 000000002C1C: BED00080
	s_lshr_b32 s81, s64, s88                                   // 000000002C20: 8F515840
	s_mul_i32 s60, s3, 4                                       // 000000002C24: 923C8403
	s_add_u32 s44, s60, s44                                    // 000000002C28: 802C2C3C
	s_addc_u32 s45, 0, s45                                     // 000000002C2C: 822D2D80
	s_load_dword s5, s[44:45], 0x0                             // 000000002C30: C0020156 00000000
	s_mul_i32 s60, s3, 32                                      // 000000002C38: 923CA003
	s_mul_i32 s60, 4, s60                                      // 000000002C3C: 923C3C84
	s_add_u32 s12, s60, s12                                    // 000000002C40: 800C0C3C
	s_addc_u32 s13, 0, s13                                     // 000000002C44: 820D0D80
	v_and_b32_e32 v4, 15, v0                                   // 000000002C48: 2608008F
	v_lshlrev_b32_e32 v4, 2, v4                                // 000000002C4C: 24080882
	buffer_load_dword v29, v4, s[12:15], 0 offen               // 000000002C50: E0501000 80031D04
	v_add_u32_e32 v4, 64, v4                                   // 000000002C58: 680808C0
	buffer_load_dword v30, v4, s[12:15], 0 offen               // 000000002C5C: E0501000 80031E04
	v_add_u32_e32 v4, 64, v4                                   // 000000002C64: 680808C0
	s_mul_i32 s60, 4, s7                                       // 000000002C68: 923C0784
	v_lshlrev_b32_e32 v4, 4, v0                                // 000000002C6C: 24080084
	v_add_u32_e32 v4, s60, v4                                  // 000000002C70: 6808083C
	buffer_load_dword v3, v4, s[12:15], 0 offen                // 000000002C74: E0501000 80030304
	v_mov_b32_e32 v52, 0                                       // 000000002C7C: 7E680280
	v_mov_b32_e32 v116, 0                                      // 000000002C80: 7EE80280
	v_mov_b32_e32 v53, 0                                       // 000000002C84: 7E6A0280
	v_mov_b32_e32 v117, 0                                      // 000000002C88: 7EEA0280
	v_mov_b32_e32 v54, 0                                       // 000000002C8C: 7E6C0280
	v_mov_b32_e32 v118, 0                                      // 000000002C90: 7EEC0280
	v_mov_b32_e32 v55, 0                                       // 000000002C94: 7E6E0280
	v_mov_b32_e32 v119, 0                                      // 000000002C98: 7EEE0280
	v_mov_b32_e32 v56, 0                                       // 000000002C9C: 7E700280
	v_mov_b32_e32 v120, 0                                      // 000000002CA0: 7EF00280
	v_mov_b32_e32 v57, 0                                       // 000000002CA4: 7E720280
	v_mov_b32_e32 v121, 0                                      // 000000002CA8: 7EF20280
	v_mov_b32_e32 v58, 0                                       // 000000002CAC: 7E740280
	v_mov_b32_e32 v122, 0                                      // 000000002CB0: 7EF40280
	v_mov_b32_e32 v59, 0                                       // 000000002CB4: 7E760280
	v_mov_b32_e32 v123, 0                                      // 000000002CB8: 7EF60280
	v_mov_b32_e32 v60, 0                                       // 000000002CBC: 7E780280
	v_mov_b32_e32 v124, 0                                      // 000000002CC0: 7EF80280
	v_mov_b32_e32 v61, 0                                       // 000000002CC4: 7E7A0280
	v_mov_b32_e32 v125, 0                                      // 000000002CC8: 7EFA0280
	v_mov_b32_e32 v62, 0                                       // 000000002CCC: 7E7C0280
	v_mov_b32_e32 v126, 0                                      // 000000002CD0: 7EFC0280
	v_mov_b32_e32 v63, 0                                       // 000000002CD4: 7E7E0280
	v_mov_b32_e32 v127, 0                                      // 000000002CD8: 7EFE0280
	v_mov_b32_e32 v64, 0                                       // 000000002CDC: 7E800280
	v_mov_b32_e32 v128, 0                                      // 000000002CE0: 7F000280
	v_mov_b32_e32 v65, 0                                       // 000000002CE4: 7E820280
	v_mov_b32_e32 v129, 0                                      // 000000002CE8: 7F020280
	v_mov_b32_e32 v66, 0                                       // 000000002CEC: 7E840280
	v_mov_b32_e32 v130, 0                                      // 000000002CF0: 7F040280
	v_mov_b32_e32 v67, 0                                       // 000000002CF4: 7E860280
	v_mov_b32_e32 v131, 0                                      // 000000002CF8: 7F060280
	v_mov_b32_e32 v68, 0                                       // 000000002CFC: 7E880280
	v_mov_b32_e32 v132, 0                                      // 000000002D00: 7F080280
	v_mov_b32_e32 v69, 0                                       // 000000002D04: 7E8A0280
	v_mov_b32_e32 v133, 0                                      // 000000002D08: 7F0A0280
	v_mov_b32_e32 v70, 0                                       // 000000002D0C: 7E8C0280
	v_mov_b32_e32 v134, 0                                      // 000000002D10: 7F0C0280
	v_mov_b32_e32 v71, 0                                       // 000000002D14: 7E8E0280
	v_mov_b32_e32 v135, 0                                      // 000000002D18: 7F0E0280
	v_mov_b32_e32 v72, 0                                       // 000000002D1C: 7E900280
	v_mov_b32_e32 v136, 0                                      // 000000002D20: 7F100280
	v_mov_b32_e32 v73, 0                                       // 000000002D24: 7E920280
	v_mov_b32_e32 v137, 0                                      // 000000002D28: 7F120280
	v_mov_b32_e32 v74, 0                                       // 000000002D2C: 7E940280
	v_mov_b32_e32 v138, 0                                      // 000000002D30: 7F140280
	v_mov_b32_e32 v75, 0                                       // 000000002D34: 7E960280
	v_mov_b32_e32 v139, 0                                      // 000000002D38: 7F160280
	v_mov_b32_e32 v76, 0                                       // 000000002D3C: 7E980280
	v_mov_b32_e32 v140, 0                                      // 000000002D40: 7F180280
	v_mov_b32_e32 v77, 0                                       // 000000002D44: 7E9A0280
	v_mov_b32_e32 v141, 0                                      // 000000002D48: 7F1A0280
	v_mov_b32_e32 v78, 0                                       // 000000002D4C: 7E9C0280
	v_mov_b32_e32 v142, 0                                      // 000000002D50: 7F1C0280
	v_mov_b32_e32 v79, 0                                       // 000000002D54: 7E9E0280
	v_mov_b32_e32 v143, 0                                      // 000000002D58: 7F1E0280
	v_mov_b32_e32 v80, 0                                       // 000000002D5C: 7EA00280
	v_mov_b32_e32 v144, 0                                      // 000000002D60: 7F200280
	v_mov_b32_e32 v81, 0                                       // 000000002D64: 7EA20280
	v_mov_b32_e32 v145, 0                                      // 000000002D68: 7F220280
	v_mov_b32_e32 v82, 0                                       // 000000002D6C: 7EA40280
	v_mov_b32_e32 v146, 0                                      // 000000002D70: 7F240280
	v_mov_b32_e32 v83, 0                                       // 000000002D74: 7EA60280
	v_mov_b32_e32 v147, 0                                      // 000000002D78: 7F260280
	v_mov_b32_e32 v84, 0                                       // 000000002D7C: 7EA80280
	v_mov_b32_e32 v148, 0                                      // 000000002D80: 7F280280
	v_mov_b32_e32 v85, 0                                       // 000000002D84: 7EAA0280
	v_mov_b32_e32 v149, 0                                      // 000000002D88: 7F2A0280
	v_mov_b32_e32 v86, 0                                       // 000000002D8C: 7EAC0280
	v_mov_b32_e32 v150, 0                                      // 000000002D90: 7F2C0280
	v_mov_b32_e32 v87, 0                                       // 000000002D94: 7EAE0280
	v_mov_b32_e32 v151, 0                                      // 000000002D98: 7F2E0280
	v_mov_b32_e32 v88, 0                                       // 000000002D9C: 7EB00280
	v_mov_b32_e32 v152, 0                                      // 000000002DA0: 7F300280
	v_mov_b32_e32 v89, 0                                       // 000000002DA4: 7EB20280
	v_mov_b32_e32 v153, 0                                      // 000000002DA8: 7F320280
	v_mov_b32_e32 v90, 0                                       // 000000002DAC: 7EB40280
	v_mov_b32_e32 v154, 0                                      // 000000002DB0: 7F340280
	v_mov_b32_e32 v91, 0                                       // 000000002DB4: 7EB60280
	v_mov_b32_e32 v155, 0                                      // 000000002DB8: 7F360280
	v_mov_b32_e32 v92, 0                                       // 000000002DBC: 7EB80280
	v_mov_b32_e32 v156, 0                                      // 000000002DC0: 7F380280
	v_mov_b32_e32 v93, 0                                       // 000000002DC4: 7EBA0280
	v_mov_b32_e32 v157, 0                                      // 000000002DC8: 7F3A0280
	v_mov_b32_e32 v94, 0                                       // 000000002DCC: 7EBC0280
	v_mov_b32_e32 v158, 0                                      // 000000002DD0: 7F3C0280
	v_mov_b32_e32 v95, 0                                       // 000000002DD4: 7EBE0280
	v_mov_b32_e32 v159, 0                                      // 000000002DD8: 7F3E0280
	v_mov_b32_e32 v96, 0                                       // 000000002DDC: 7EC00280
	v_mov_b32_e32 v160, 0                                      // 000000002DE0: 7F400280
	v_mov_b32_e32 v97, 0                                       // 000000002DE4: 7EC20280
	v_mov_b32_e32 v161, 0                                      // 000000002DE8: 7F420280
	v_mov_b32_e32 v98, 0                                       // 000000002DEC: 7EC40280
	v_mov_b32_e32 v162, 0                                      // 000000002DF0: 7F440280
	v_mov_b32_e32 v99, 0                                       // 000000002DF4: 7EC60280
	v_mov_b32_e32 v163, 0                                      // 000000002DF8: 7F460280
	v_mov_b32_e32 v100, 0                                      // 000000002DFC: 7EC80280
	v_mov_b32_e32 v164, 0                                      // 000000002E00: 7F480280
	v_mov_b32_e32 v101, 0                                      // 000000002E04: 7ECA0280
	v_mov_b32_e32 v165, 0                                      // 000000002E08: 7F4A0280
	v_mov_b32_e32 v102, 0                                      // 000000002E0C: 7ECC0280
	v_mov_b32_e32 v166, 0                                      // 000000002E10: 7F4C0280
	v_mov_b32_e32 v103, 0                                      // 000000002E14: 7ECE0280
	v_mov_b32_e32 v167, 0                                      // 000000002E18: 7F4E0280
	v_mov_b32_e32 v104, 0                                      // 000000002E1C: 7ED00280
	v_mov_b32_e32 v168, 0                                      // 000000002E20: 7F500280
	v_mov_b32_e32 v105, 0                                      // 000000002E24: 7ED20280
	v_mov_b32_e32 v169, 0                                      // 000000002E28: 7F520280
	v_mov_b32_e32 v106, 0                                      // 000000002E2C: 7ED40280
	v_mov_b32_e32 v170, 0                                      // 000000002E30: 7F540280
	v_mov_b32_e32 v107, 0                                      // 000000002E34: 7ED60280
	v_mov_b32_e32 v171, 0                                      // 000000002E38: 7F560280
	v_mov_b32_e32 v108, 0                                      // 000000002E3C: 7ED80280
	v_mov_b32_e32 v172, 0                                      // 000000002E40: 7F580280
	v_mov_b32_e32 v109, 0                                      // 000000002E44: 7EDA0280
	v_mov_b32_e32 v173, 0                                      // 000000002E48: 7F5A0280
	v_mov_b32_e32 v110, 0                                      // 000000002E4C: 7EDC0280
	v_mov_b32_e32 v174, 0                                      // 000000002E50: 7F5C0280
	v_mov_b32_e32 v111, 0                                      // 000000002E54: 7EDE0280
	v_mov_b32_e32 v175, 0                                      // 000000002E58: 7F5E0280
	v_mov_b32_e32 v112, 0                                      // 000000002E5C: 7EE00280
	v_mov_b32_e32 v176, 0                                      // 000000002E60: 7F600280
	v_mov_b32_e32 v113, 0                                      // 000000002E64: 7EE20280
	v_mov_b32_e32 v177, 0                                      // 000000002E68: 7F620280
	v_mov_b32_e32 v114, 0                                      // 000000002E6C: 7EE40280
	v_mov_b32_e32 v178, 0                                      // 000000002E70: 7F640280
	v_mov_b32_e32 v115, 0                                      // 000000002E74: 7EE60280
	v_mov_b32_e32 v179, 0                                      // 000000002E78: 7F660280
	s_mul_i32 s60, s2, 0x400                                   // 000000002E7C: 923CFF02 00000400
	s_cmp_eq_u32 s88, 0                                        // 000000002E84: BF068058
	s_cselect_b32 s61, 1, 2                                    // 000000002E88: 853D8281
	s_mul_i32 s60, s60, s61                                    // 000000002E8C: 923C3D3C
	s_mov_b32 s90, s8                                          // 000000002E90: BEDA0008
	s_mov_b32 s91, s9                                          // 000000002E94: BEDB0009
	s_add_u32 s8, s60, s8                                      // 000000002E98: 8008083C
	s_addc_u32 s9, 0, s9                                       // 000000002E9C: 82090980
	v_lshrrev_b32_e32 v4, 4, v0                                // 000000002EA0: 20080084
	v_mul_lo_u32 v20, 34, v4                                   // 000000002EA4: D2850014 000208A2
	v_and_b32_e32 v4, 15, v0                                   // 000000002EAC: 2608008F
	v_mul_lo_u32 v5, 2, v4                                     // 000000002EB0: D2850005 00020882
	v_add_u32_e32 v20, v5, v20                                 // 000000002EB8: 68282905
	s_mul_i32 s60, s7, 0x88                                    // 000000002EBC: 923CFF07 00000088
	v_add_u32_e32 v20, s60, v20                                // 000000002EC4: 6828283C
	v_lshlrev_b32_e32 v20, 2, v20                              // 000000002EC8: 24282882
	v_and_b32_e32 v4, 31, v0                                   // 000000002ECC: 2608009F
	v_lshrrev_b32_e32 v4, 1, v4                                // 000000002ED0: 20080881
	v_mul_lo_u32 v21, 34, v4                                   // 000000002ED4: D2850015 000208A2
	v_lshrrev_b32_e32 v4, 5, v0                                // 000000002EDC: 20080085
	v_mul_lo_u32 v4, 8, v4                                     // 000000002EE0: D2850004 00020888
	v_add_u32_e32 v21, v21, v4                                 // 000000002EE8: 682A0915
	v_and_b32_e32 v5, 1, v0                                    // 000000002EEC: 260A0081
	v_add_u32_e32 v21, v5, v21                                 // 000000002EF0: 682A2B05
	s_mul_i32 s60, s7, 2                                       // 000000002EF4: 923C8207
	v_add_u32_e32 v21, s60, v21                                // 000000002EF8: 682A2A3C
	v_lshlrev_b32_e32 v21, 2, v21                              // 000000002EFC: 242A2A82
	s_mul_i32 s60, s7, 0x420                                   // 000000002F00: 923CFF07 00000420
	s_add_u32 s48, 0, s60                                      // 000000002F08: 80303C80
	s_add_u32 s49, 0x1080, s48                                 // 000000002F0C: 803130FF 00001080
	v_lshrrev_b32_e32 v4, 4, v0                                // 000000002F14: 20080084
	v_lshlrev_b32_e32 v5, 2, v4                                // 000000002F18: 240A0882
	v_and_b32_e32 v4, 15, v0                                   // 000000002F1C: 2608008F
	v_lshrrev_b32_e32 v6, 2, v4                                // 000000002F20: 200C0882
	v_lshlrev_b32_e32 v6, 5, v6                                // 000000002F24: 240C0C85
	v_add_u32_e32 v5, v6, v5                                   // 000000002F28: 680A0B06
	v_and_b32_e32 v4, 3, v0                                    // 000000002F2C: 26080083
	v_mul_u32_u24_e32 v6, 0x108, v4                            // 000000002F30: 100C08FF 00000108
	v_add_u32_e32 v5, v6, v5                                   // 000000002F38: 680A0B06
	v_lshlrev_b32_e32 v2, 2, v5                                // 000000002F3C: 24040A82
	s_waitcnt lgkmcnt(0)                                       // 000000002F40: BF8CC07F
	s_mul_i32 s60, s2, 0x200                                   // 000000002F44: 923CFF02 00000200
	s_mul_i32 s60, s60, s69                                    // 000000002F4C: 923C453C
	s_mul_i32 s61, s5, s72                                     // 000000002F50: 923D4805
	s_add_u32 s60, s61, s60                                    // 000000002F54: 803C3C3D
	s_add_u32 s24, s60, s24                                    // 000000002F58: 8018183C
	s_addc_u32 s25, 0, s25                                     // 000000002F5C: 82191980
	s_lshr_b32 s60, s64, s88                                   // 000000002F60: 8F3C5840
	s_mul_i32 s60, s4, s60                                     // 000000002F64: 923C3C04
	s_lshr_b32 s60, s60, 7                                     // 000000002F68: 8F3C873C
	s_mul_i32 s60, s60, 0x800                                  // 000000002F6C: 923CFF3C 00000800
	s_add_u32 s24, s60, s24                                    // 000000002F74: 8018183C
	s_addc_u32 s25, 0, s25                                     // 000000002F78: 82191980
	s_lshr_b32 s60, s69, s88                                   // 000000002F7C: 8F3C5845
	s_mul_i32 s60, s4, s60                                     // 000000002F80: 923C3C04
	s_add_u32 s20, s60, s20                                    // 000000002F84: 8014143C
	s_addc_u32 s21, 0, s21                                     // 000000002F88: 82151580
	s_mul_i32 s60, s7, 16                                      // 000000002F8C: 923C9007
	s_mul_i32 s60, s60, s69                                    // 000000002F90: 923C453C
	v_lshlrev_b32_e32 v41, 4, v0                               // 000000002F94: 24520084
	v_add_u32_e32 v41, s60, v41                                // 000000002F98: 6852523C
	s_mul_i32 s60, 64, s69                                     // 000000002F9C: 923C45C0
	v_add_u32_e32 v42, s60, v41                                // 000000002FA0: 6854523C
	v_add_u32_e32 v43, s60, v42                                // 000000002FA4: 6856543C
	v_add_u32_e32 v44, s60, v43                                // 000000002FA8: 6858563C
	v_add_u32_e32 v45, s60, v44                                // 000000002FAC: 685A583C
	v_add_u32_e32 v46, s60, v45                                // 000000002FB0: 685C5A3C
	v_add_u32_e32 v47, s60, v46                                // 000000002FB4: 685E5C3C
	v_add_u32_e32 v48, s60, v47                                // 000000002FB8: 68605E3C
	s_mov_b32 s84, s24                                         // 000000002FBC: BED40018
	s_mov_b32 s85, s25                                         // 000000002FC0: BED50019
	s_mov_b32 s86, s26                                         // 000000002FC4: BED6001A
	s_mov_b32 s87, s27                                         // 000000002FC8: BED7001B
	s_mul_i32 s60, s69, s65                                    // 000000002FCC: 923C4145
	s_add_u32 s84, s60, s84                                    // 000000002FD0: 8054543C
	s_addc_u32 s85, 0, s85                                     // 000000002FD4: 82555580
	v_lshrrev_b32_e32 v4, 4, v0                                // 000000002FD8: 20080084
	v_lshlrev_b32_e32 v5, 2, v4                                // 000000002FDC: 240A0882
	v_and_b32_e32 v4, 15, v0                                   // 000000002FE0: 2608008F
	v_lshrrev_b32_e32 v6, 2, v4                                // 000000002FE4: 200C0882
	v_lshlrev_b32_e32 v6, 6, v6                                // 000000002FE8: 240C0C86
	v_add_u32_e32 v5, v6, v5                                   // 000000002FEC: 680A0B06
	v_and_b32_e32 v4, 3, v0                                    // 000000002FF0: 26080083
	v_add_u32_e32 v5, v4, v5                                   // 000000002FF4: 680A0B04
	v_lshlrev_b32_e32 v22, 2, v5                               // 000000002FF8: 242C0A82
	v_add_u32_e32 v23, 0x400, v22                              // 000000002FFC: 682E2CFF 00000400
	s_mul_i32 s60, s7, 16                                      // 000000003004: 923C9007
	s_mul_i32 s60, s60, 4                                      // 000000003008: 923C843C
	v_add_u32_e32 v22, s60, v22                                // 00000000300C: 682C2C3C
	v_add_u32_e32 v23, s60, v23                                // 000000003010: 682E2E3C
	s_mul_i32 s60, s2, 0x200                                   // 000000003014: 923CFF02 00000200
	s_mul_i32 s60, s60, 4                                      // 00000000301C: 923C843C
	s_mul_i32 s61, s5, s74                                     // 000000003020: 923D4A05
	s_add_u32 s61, s61, s60                                    // 000000003024: 803D3C3D
	s_add_u32 s32, s61, s32                                    // 000000003028: 8020203D
	s_addc_u32 s33, 0, s33                                     // 00000000302C: 82212180
	s_mov_b32 s57, 0x80                                        // 000000003030: BEB900FF 00000080
	s_mov_b32 s58, 0x800                                       // 000000003038: BEBA00FF 00000800
	s_mov_b32 s83, s58                                         // 000000003040: BED3003A
	s_mov_b32 s52, 0x7060302                                   // 000000003044: BEB400FF 07060302
	s_mov_b32 s53, 0x400                                       // 00000000304C: BEB500FF 00000400
	s_mov_b32 s54, 0x40100                                     // 000000003054: BEB600FF 00040100
	s_mov_b32 s55, 0x4020100                                   // 00000000305C: BEB700FF 04020100
	s_mov_b32 s6, 0x3fb8aa3b                                   // 000000003064: BE8600FF 3FB8AA3B
	s_mov_b32 s78, 0xbd92220c                                  // 00000000306C: BECE00FF BD92220C
	s_mov_b32 s79, 0xbd92220c                                  // 000000003074: BECF00FF BD92220C
	s_mov_b32 m0, s48                                          // 00000000307C: BEFC0030
	v_mov_b32_e32 v1, 0xbfcc4231                               // 000000003080: 7E0202FF BFCC4231
	v_mov_b32_e32 v17, 0xffff0000                              // 000000003088: 7E2202FF FFFF0000
	v_mov_b32_e32 v18, 0x7fff0000                              // 000000003090: 7E2402FF 7FFF0000
	v_mov_b32_e32 v19, 0x7fff                                  // 000000003098: 7E2602FF 00007FFF
	s_waitcnt vmcnt(0) expcnt(0) lgkmcnt(0)                    // 0000000030A0: BF8C0000
	s_mul_i32 s60, s3, 32                                      // 0000000030A4: 923CA003
	s_mul_i32 s60, 4, s60                                      // 0000000030A8: 923C3C84
	s_add_u32 s40, s60, s40                                    // 0000000030AC: 8028283C
	s_addc_u32 s41, 0, s41                                     // 0000000030B0: 82292980
	v_and_b32_e32 v4, 15, v0                                   // 0000000030B4: 2608008F
	v_lshlrev_b32_e32 v4, 2, v4                                // 0000000030B8: 24080882
	buffer_load_dword v180, v4, s[40:43], 0 offen              // 0000000030BC: E0501000 800AB404
	buffer_load_dword v181, v4, s[40:43], 0 offen offset:64    // 0000000030C4: E0501040 800AB504
	v_lshrrev_b32_e32 v4, 5, v0                                // 0000000030CC: 20080085
	v_xor_b32_e32 v5, 1, v4                                    // 0000000030D0: 2A0A0881
	v_readlane_b32 s82, v3, 0                                  // 0000000030D4: D2890052 00010103
	s_and_b32 s82, s82, 0xffffff                               // 0000000030DC: 8652FF52 00FFFFFF
	v_mul_lo_u32 v6, v5, s82                                   // 0000000030E4: D2850006 0000A505
	v_readlane_b32 s82, v3, 1                                  // 0000000030EC: D2890052 00010303
	s_and_b32 s82, s82, 0xffffff                               // 0000000030F4: 8652FF52 00FFFFFF
	v_mul_lo_u32 v7, v4, s82                                   // 0000000030FC: D2850007 0000A504
	v_add_u32_e32 v37, v6, v7                                  // 000000003104: 684A0F06
	v_mul_lo_u32 v37, v37, s68                                 // 000000003108: D2850025 00008925
	v_readlane_b32 s82, v3, 2                                  // 000000003110: D2890052 00010503
	s_and_b32 s82, s82, 0xffffff                               // 000000003118: 8652FF52 00FFFFFF
	v_mul_lo_u32 v6, v5, s82                                   // 000000003120: D2850006 0000A505
	v_readlane_b32 s82, v3, 3                                  // 000000003128: D2890052 00010703
	s_and_b32 s82, s82, 0xffffff                               // 000000003130: 8652FF52 00FFFFFF
	v_mul_lo_u32 v7, v4, s82                                   // 000000003138: D2850007 0000A504
	v_add_u32_e32 v38, v6, v7                                  // 000000003140: 684C0F06
	v_mul_lo_u32 v38, v38, s68                                 // 000000003144: D2850026 00008926
	v_readlane_b32 s82, v3, 4                                  // 00000000314C: D2890052 00010903
	s_and_b32 s82, s82, 0xffffff                               // 000000003154: 8652FF52 00FFFFFF
	v_mul_lo_u32 v6, v5, s82                                   // 00000000315C: D2850006 0000A505
	v_readlane_b32 s82, v3, 5                                  // 000000003164: D2890052 00010B03
	s_and_b32 s82, s82, 0xffffff                               // 00000000316C: 8652FF52 00FFFFFF
	v_mul_lo_u32 v7, v4, s82                                   // 000000003174: D2850007 0000A504
	v_add_u32_e32 v39, v6, v7                                  // 00000000317C: 684E0F06
	v_mul_lo_u32 v39, v39, s68                                 // 000000003180: D2850027 00008927
	v_readlane_b32 s82, v3, 6                                  // 000000003188: D2890052 00010D03
	s_and_b32 s82, s82, 0xffffff                               // 000000003190: 8652FF52 00FFFFFF
	v_mul_lo_u32 v6, v5, s82                                   // 000000003198: D2850006 0000A505
	v_readlane_b32 s82, v3, 7                                  // 0000000031A0: D2890052 00010F03
	s_and_b32 s82, s82, 0xffffff                               // 0000000031A8: 8652FF52 00FFFFFF
	v_mul_lo_u32 v7, v4, s82                                   // 0000000031B0: D2850007 0000A504
	v_add_u32_e32 v40, v6, v7                                  // 0000000031B8: 68500F06
	v_mul_lo_u32 v40, v40, s68                                 // 0000000031BC: D2850028 00008928
	v_and_b32_e32 v4, 31, v0                                   // 0000000031C4: 2608009F
	v_lshlrev_b32_e32 v4, 2, v4                                // 0000000031C8: 24080882
	v_add_u32_e32 v37, v37, v4                                 // 0000000031CC: 684A0925
	v_add_u32_e32 v38, v38, v4                                 // 0000000031D0: 684C0926
	v_add_u32_e32 v39, v39, v4                                 // 0000000031D4: 684E0927
	v_add_u32_e32 v40, v40, v4                                 // 0000000031D8: 68500928
	v_and_b32_e32 v29, 0xffffff, v29                           // 0000000031DC: 263A3AFF 00FFFFFF
	v_lshlrev_b32_e32 v29, 2, v29                              // 0000000031E4: 243A3A82
	v_and_b32_e32 v30, 0xffffff, v30                           // 0000000031E8: 263C3CFF 00FFFFFF
	v_lshlrev_b32_e32 v30, 2, v30                              // 0000000031F0: 243C3C82
	s_lshl_b32 s3, s66, 2                                      // 0000000031F4: 8E038242
	buffer_load_dword v31, v29, s[28:31], 0 offen              // 0000000031F8: E0501000 80071F1D
	buffer_load_dword v32, v30, s[28:31], 0 offen              // 000000003200: E0501000 8007201E
	buffer_load_dword v25, v22, s[32:35], 0 offen              // 000000003208: E0501000 80081916
	buffer_load_dword v26, v23, s[32:35], 0 offen              // 000000003210: E0501000 80081A17
	s_mul_i32 s60, 4, s65                                      // 000000003218: 923C4184
	s_add_u32 s32, s60, s32                                    // 00000000321C: 8020203C
	s_addc_u32 s33, 0, s33                                     // 000000003220: 82212180
	buffer_load_dword v27, v22, s[32:35], 0 offen              // 000000003224: E0501000 80081B16
	buffer_load_dword v28, v23, s[32:35], 0 offen              // 00000000322C: E0501000 80081C17
	buffer_load_dword v37, s[20:23], 0 offen lds               // 000000003234: E0511000 80050025
	s_add_u32 m0, 0x100, s48                                   // 00000000323C: 807C30FF 00000100
	buffer_load_dword v38, s[20:23], 0 offen lds               // 000000003244: E0511000 80050026
	s_add_u32 m0, 0x200, s48                                   // 00000000324C: 807C30FF 00000200
	buffer_load_dword v39, s[20:23], 0 offen lds               // 000000003254: E0511000 80050027
	s_add_u32 m0, 0x300, s48                                   // 00000000325C: 807C30FF 00000300
	buffer_load_dword v40, s[20:23], 0 offen lds               // 000000003264: E0511000 80050028
	s_add_u32 m0, 0, s49                                       // 00000000326C: 807C3180
	s_add_u32 s20, s57, s20                                    // 000000003270: 80141439
	s_addc_u32 s21, 0, s21                                     // 000000003274: 82151580
	buffer_load_dword v37, s[20:23], 0 offen lds               // 000000003278: E0511000 80050025
	s_add_u32 m0, 0x100, s49                                   // 000000003280: 807C31FF 00000100
	buffer_load_dword v38, s[20:23], 0 offen lds               // 000000003288: E0511000 80050026
	s_add_u32 m0, 0x200, s49                                   // 000000003290: 807C31FF 00000200
	buffer_load_dword v39, s[20:23], 0 offen lds               // 000000003298: E0511000 80050027
	s_add_u32 m0, 0x300, s49                                   // 0000000032A0: 807C31FF 00000300
	buffer_load_dword v40, s[20:23], 0 offen lds               // 0000000032A8: E0511000 80050028
	s_add_u32 m0, 0, s48                                       // 0000000032B0: 807C3080
	s_add_u32 s20, s57, s20                                    // 0000000032B4: 80141439
	s_addc_u32 s21, 0, s21                                     // 0000000032B8: 82151580
	buffer_load_dwordx4 a[32:35], v41, s[24:27], 0 offen       // 0000000032BC: E05C1000 80862029
	buffer_load_dwordx4 a[36:39], v41, s[24:27], 0 offen offset:1024// 0000000032C4: E05C1400 80862429
	buffer_load_dwordx4 a[40:43], v42, s[24:27], 0 offen       // 0000000032CC: E05C1000 8086282A
	buffer_load_dwordx4 a[44:47], v42, s[24:27], 0 offen offset:1024// 0000000032D4: E05C1400 80862C2A
	buffer_load_dwordx4 a[48:51], v43, s[24:27], 0 offen       // 0000000032DC: E05C1000 8086302B
	buffer_load_dwordx4 a[52:55], v43, s[24:27], 0 offen offset:1024// 0000000032E4: E05C1400 8086342B
	buffer_load_dwordx4 a[56:59], v44, s[24:27], 0 offen       // 0000000032EC: E05C1000 8086382C
	buffer_load_dwordx4 a[60:63], v44, s[24:27], 0 offen offset:1024// 0000000032F4: E05C1400 80863C2C
	buffer_load_dwordx4 a[64:67], v45, s[24:27], 0 offen       // 0000000032FC: E05C1000 8086402D
	buffer_load_dwordx4 a[68:71], v45, s[24:27], 0 offen offset:1024// 000000003304: E05C1400 8086442D
	buffer_load_dwordx4 a[72:75], v46, s[24:27], 0 offen       // 00000000330C: E05C1000 8086482E
	buffer_load_dwordx4 a[76:79], v46, s[24:27], 0 offen offset:1024// 000000003314: E05C1400 80864C2E
	buffer_load_dwordx4 a[80:83], v47, s[24:27], 0 offen       // 00000000331C: E05C1000 8086502F
	buffer_load_dwordx4 a[84:87], v47, s[24:27], 0 offen offset:1024// 000000003324: E05C1400 8086542F
	buffer_load_dwordx4 a[88:91], v48, s[24:27], 0 offen       // 00000000332C: E05C1000 80865830
	buffer_load_dwordx4 a[92:95], v48, s[24:27], 0 offen offset:1024// 000000003334: E05C1400 80865C30
	s_add_u32 s24, s58, s24                                    // 00000000333C: 8018183A
	s_addc_u32 s25, 0, s25                                     // 000000003340: 82191980
	s_waitcnt vmcnt(20)                                        // 000000003344: BF8C4F74
	s_barrier                                                  // 000000003348: BF8A0000
	ds_read_b128 a[0:3], v2                                    // 00000000334C: DBFE0000 00000002
	ds_read_b128 a[4:7], v2 offset:64                          // 000000003354: DBFE0040 04000002
	ds_read_b128 a[8:11], v2 offset:512                        // 00000000335C: DBFE0200 08000002
	ds_read_b128 a[12:15], v2 offset:576                       // 000000003364: DBFE0240 0C000002
	s_cmp_lt_i32 s7, 2                                         // 00000000336C: BF048207
	s_cbranch_scc0 label_1270                                  // 000000003370: BF841010

0000000000003374 <label_025D>:
	s_waitcnt vmcnt(14) lgkmcnt(0)                             // 000000003374: BF8C007E
	s_barrier                                                  // 000000003378: BF8A0000
	v_mfma_f32_16x16x32_fp8_fp8 v[52:55], a[32:33], a[0:1], v[52:55]// 00000000337C: D3F30034 1CD20120
	v_mfma_f32_16x16x32_fp8_fp8 v[52:55], a[34:35], a[2:3], v[52:55]// 000000003384: D3F30034 1CD20522
	buffer_load_dwordx4 a[96:99], v41, s[84:87], 0 offen       // 00000000338C: E05C1000 80956029
	v_mfma_f32_16x16x32_fp8_fp8 v[52:55], a[36:37], a[4:5], v[52:55]// 000000003394: D3F30034 1CD20924
	v_mfma_f32_16x16x32_fp8_fp8 v[52:55], a[38:39], a[6:7], v[52:55]// 00000000339C: D3F30034 1CD20D26
	v_mfma_f32_16x16x32_fp8_fp8 v[56:59], a[32:33], a[8:9], v[56:59]// 0000000033A4: D3F30038 1CE21120
	v_mfma_f32_16x16x32_fp8_fp8 v[56:59], a[34:35], a[10:11], v[56:59]// 0000000033AC: D3F30038 1CE21522
	buffer_load_dwordx4 a[100:103], v41, s[84:87], 0 offen offset:1024// 0000000033B4: E05C1400 80956429
	v_mfma_f32_16x16x32_fp8_fp8 v[56:59], a[36:37], a[12:13], v[56:59]// 0000000033BC: D3F30038 1CE21924
	v_mfma_f32_16x16x32_fp8_fp8 v[56:59], a[38:39], a[14:15], v[56:59]// 0000000033C4: D3F30038 1CE21D26
	s_waitcnt vmcnt(14)                                        // 0000000033CC: BF8C0F7E
	v_mfma_f32_16x16x32_fp8_fp8 v[60:63], a[40:41], a[0:1], v[60:63]// 0000000033D0: D3F3003C 1CF20128
	v_mfma_f32_16x16x32_fp8_fp8 v[60:63], a[42:43], a[2:3], v[60:63]// 0000000033D8: D3F3003C 1CF2052A
	buffer_load_dwordx4 a[104:107], v42, s[84:87], 0 offen     // 0000000033E0: E05C1000 8095682A
	v_mfma_f32_16x16x32_fp8_fp8 v[60:63], a[44:45], a[4:5], v[60:63]// 0000000033E8: D3F3003C 1CF2092C
	v_mfma_f32_16x16x32_fp8_fp8 v[60:63], a[46:47], a[6:7], v[60:63]// 0000000033F0: D3F3003C 1CF20D2E
	v_mfma_f32_16x16x32_fp8_fp8 v[64:67], a[40:41], a[8:9], v[64:67]// 0000000033F8: D3F30040 1D021128
	v_mfma_f32_16x16x32_fp8_fp8 v[64:67], a[42:43], a[10:11], v[64:67]// 000000003400: D3F30040 1D02152A
	buffer_load_dwordx4 a[108:111], v42, s[84:87], 0 offen offset:1024// 000000003408: E05C1400 80956C2A
	v_mfma_f32_16x16x32_fp8_fp8 v[64:67], a[44:45], a[12:13], v[64:67]// 000000003410: D3F30040 1D02192C
	v_mfma_f32_16x16x32_fp8_fp8 v[64:67], a[46:47], a[14:15], v[64:67]// 000000003418: D3F30040 1D021D2E
	s_waitcnt vmcnt(14)                                        // 000000003420: BF8C0F7E
	v_mfma_f32_16x16x32_fp8_fp8 v[68:71], a[48:49], a[0:1], v[68:71]// 000000003424: D3F30044 1D120130
	v_mfma_f32_16x16x32_fp8_fp8 v[68:71], a[50:51], a[2:3], v[68:71]// 00000000342C: D3F30044 1D120532
	buffer_load_dwordx4 a[112:115], v43, s[84:87], 0 offen     // 000000003434: E05C1000 8095702B
	v_mfma_f32_16x16x32_fp8_fp8 v[68:71], a[52:53], a[4:5], v[68:71]// 00000000343C: D3F30044 1D120934
	v_mfma_f32_16x16x32_fp8_fp8 v[68:71], a[54:55], a[6:7], v[68:71]// 000000003444: D3F30044 1D120D36
	v_mfma_f32_16x16x32_fp8_fp8 v[72:75], a[48:49], a[8:9], v[72:75]// 00000000344C: D3F30048 1D221130
	v_mfma_f32_16x16x32_fp8_fp8 v[72:75], a[50:51], a[10:11], v[72:75]// 000000003454: D3F30048 1D221532
	buffer_load_dwordx4 a[116:119], v43, s[84:87], 0 offen offset:1024// 00000000345C: E05C1400 8095742B
	v_mfma_f32_16x16x32_fp8_fp8 v[72:75], a[52:53], a[12:13], v[72:75]// 000000003464: D3F30048 1D221934
	v_mfma_f32_16x16x32_fp8_fp8 v[72:75], a[54:55], a[14:15], v[72:75]// 00000000346C: D3F30048 1D221D36
	s_waitcnt vmcnt(14)                                        // 000000003474: BF8C0F7E
	v_mfma_f32_16x16x32_fp8_fp8 v[76:79], a[56:57], a[0:1], v[76:79]// 000000003478: D3F3004C 1D320138
	v_mfma_f32_16x16x32_fp8_fp8 v[76:79], a[58:59], a[2:3], v[76:79]// 000000003480: D3F3004C 1D32053A
	buffer_load_dwordx4 a[120:123], v44, s[84:87], 0 offen     // 000000003488: E05C1000 8095782C
	v_mfma_f32_16x16x32_fp8_fp8 v[76:79], a[60:61], a[4:5], v[76:79]// 000000003490: D3F3004C 1D32093C
	v_mfma_f32_16x16x32_fp8_fp8 v[76:79], a[62:63], a[6:7], v[76:79]// 000000003498: D3F3004C 1D320D3E
	v_mfma_f32_16x16x32_fp8_fp8 v[80:83], a[56:57], a[8:9], v[80:83]// 0000000034A0: D3F30050 1D421138
	v_mfma_f32_16x16x32_fp8_fp8 v[80:83], a[58:59], a[10:11], v[80:83]// 0000000034A8: D3F30050 1D42153A
	buffer_load_dwordx4 a[124:127], v44, s[84:87], 0 offen offset:1024// 0000000034B0: E05C1400 80957C2C
	v_mfma_f32_16x16x32_fp8_fp8 v[80:83], a[60:61], a[12:13], v[80:83]// 0000000034B8: D3F30050 1D42193C
	v_mfma_f32_16x16x32_fp8_fp8 v[80:83], a[62:63], a[14:15], v[80:83]// 0000000034C0: D3F30050 1D421D3E
	s_waitcnt vmcnt(14)                                        // 0000000034C8: BF8C0F7E
	v_mfma_f32_16x16x32_fp8_fp8 v[84:87], a[64:65], a[0:1], v[84:87]// 0000000034CC: D3F30054 1D520140
	v_mfma_f32_16x16x32_fp8_fp8 v[84:87], a[66:67], a[2:3], v[84:87]// 0000000034D4: D3F30054 1D520542
	buffer_load_dwordx4 a[128:131], v45, s[84:87], 0 offen     // 0000000034DC: E05C1000 8095802D
	v_mfma_f32_16x16x32_fp8_fp8 v[84:87], a[68:69], a[4:5], v[84:87]// 0000000034E4: D3F30054 1D520944
	v_mfma_f32_16x16x32_fp8_fp8 v[84:87], a[70:71], a[6:7], v[84:87]// 0000000034EC: D3F30054 1D520D46
	v_mfma_f32_16x16x32_fp8_fp8 v[88:91], a[64:65], a[8:9], v[88:91]// 0000000034F4: D3F30058 1D621140
	v_mfma_f32_16x16x32_fp8_fp8 v[88:91], a[66:67], a[10:11], v[88:91]// 0000000034FC: D3F30058 1D621542
	buffer_load_dwordx4 a[132:135], v45, s[84:87], 0 offen offset:1024// 000000003504: E05C1400 8095842D
	v_mfma_f32_16x16x32_fp8_fp8 v[88:91], a[68:69], a[12:13], v[88:91]// 00000000350C: D3F30058 1D621944
	v_mfma_f32_16x16x32_fp8_fp8 v[88:91], a[70:71], a[14:15], v[88:91]// 000000003514: D3F30058 1D621D46
	s_waitcnt vmcnt(14)                                        // 00000000351C: BF8C0F7E
	v_mfma_f32_16x16x32_fp8_fp8 v[92:95], a[72:73], a[0:1], v[92:95]// 000000003520: D3F3005C 1D720148
	v_mfma_f32_16x16x32_fp8_fp8 v[92:95], a[74:75], a[2:3], v[92:95]// 000000003528: D3F3005C 1D72054A
	buffer_load_dwordx4 a[136:139], v46, s[84:87], 0 offen     // 000000003530: E05C1000 8095882E
	v_mfma_f32_16x16x32_fp8_fp8 v[92:95], a[76:77], a[4:5], v[92:95]// 000000003538: D3F3005C 1D72094C
	v_mfma_f32_16x16x32_fp8_fp8 v[92:95], a[78:79], a[6:7], v[92:95]// 000000003540: D3F3005C 1D720D4E
	v_mfma_f32_16x16x32_fp8_fp8 v[96:99], a[72:73], a[8:9], v[96:99]// 000000003548: D3F30060 1D821148
	v_mfma_f32_16x16x32_fp8_fp8 v[96:99], a[74:75], a[10:11], v[96:99]// 000000003550: D3F30060 1D82154A
	buffer_load_dwordx4 a[140:143], v46, s[84:87], 0 offen offset:1024// 000000003558: E05C1400 80958C2E
	v_mfma_f32_16x16x32_fp8_fp8 v[96:99], a[76:77], a[12:13], v[96:99]// 000000003560: D3F30060 1D82194C
	v_mfma_f32_16x16x32_fp8_fp8 v[96:99], a[78:79], a[14:15], v[96:99]// 000000003568: D3F30060 1D821D4E
	s_waitcnt vmcnt(14)                                        // 000000003570: BF8C0F7E
	v_mfma_f32_16x16x32_fp8_fp8 v[100:103], a[80:81], a[0:1], v[100:103]// 000000003574: D3F30064 1D920150
	v_mfma_f32_16x16x32_fp8_fp8 v[100:103], a[82:83], a[2:3], v[100:103]// 00000000357C: D3F30064 1D920552
	buffer_load_dwordx4 a[144:147], v47, s[84:87], 0 offen     // 000000003584: E05C1000 8095902F
	v_mfma_f32_16x16x32_fp8_fp8 v[100:103], a[84:85], a[4:5], v[100:103]// 00000000358C: D3F30064 1D920954
	v_mfma_f32_16x16x32_fp8_fp8 v[100:103], a[86:87], a[6:7], v[100:103]// 000000003594: D3F30064 1D920D56
	v_mfma_f32_16x16x32_fp8_fp8 v[104:107], a[80:81], a[8:9], v[104:107]// 00000000359C: D3F30068 1DA21150
	v_mfma_f32_16x16x32_fp8_fp8 v[104:107], a[82:83], a[10:11], v[104:107]// 0000000035A4: D3F30068 1DA21552
	buffer_load_dwordx4 a[148:151], v47, s[84:87], 0 offen offset:1024// 0000000035AC: E05C1400 8095942F
	v_mfma_f32_16x16x32_fp8_fp8 v[104:107], a[84:85], a[12:13], v[104:107]// 0000000035B4: D3F30068 1DA21954
	v_mfma_f32_16x16x32_fp8_fp8 v[104:107], a[86:87], a[14:15], v[104:107]// 0000000035BC: D3F30068 1DA21D56
	s_waitcnt vmcnt(14)                                        // 0000000035C4: BF8C0F7E
	v_mfma_f32_16x16x32_fp8_fp8 v[108:111], a[88:89], a[0:1], v[108:111]// 0000000035C8: D3F3006C 1DB20158
	v_mfma_f32_16x16x32_fp8_fp8 v[108:111], a[90:91], a[2:3], v[108:111]// 0000000035D0: D3F3006C 1DB2055A
	buffer_load_dwordx4 a[152:155], v48, s[84:87], 0 offen     // 0000000035D8: E05C1000 80959830
	v_mfma_f32_16x16x32_fp8_fp8 v[108:111], a[92:93], a[4:5], v[108:111]// 0000000035E0: D3F3006C 1DB2095C
	v_mfma_f32_16x16x32_fp8_fp8 v[108:111], a[94:95], a[6:7], v[108:111]// 0000000035E8: D3F3006C 1DB20D5E
	v_mfma_f32_16x16x32_fp8_fp8 v[112:115], a[88:89], a[8:9], v[112:115]// 0000000035F0: D3F30070 1DC21158
	v_mfma_f32_16x16x32_fp8_fp8 v[112:115], a[90:91], a[10:11], v[112:115]// 0000000035F8: D3F30070 1DC2155A
	buffer_load_dwordx4 a[156:159], v48, s[84:87], 0 offen offset:1024// 000000003600: E05C1400 80959C30
	buffer_load_dword v37, s[20:23], 0 offen lds               // 000000003608: E0511000 80050025
	s_add_u32 m0, 0x100, s48                                   // 000000003610: 807C30FF 00000100
	s_add_u32 s60, 0x80, s80                                   // 000000003618: 803C50FF 00000080
	s_cmp_lt_u32 s60, s81                                      // 000000003620: BF0A513C
	s_cselect_b32 s83, s83, 0                                  // 000000003624: 85538053
	v_mfma_f32_16x16x32_fp8_fp8 v[112:115], a[92:93], a[12:13], v[112:115]// 000000003628: D3F30070 1DC2195C
	v_mfma_f32_16x16x32_fp8_fp8 v[112:115], a[94:95], a[14:15], v[112:115]// 000000003630: D3F30070 1DC21D5E
	buffer_load_dword v38, s[20:23], 0 offen lds               // 000000003638: E0511000 80050026
	s_add_u32 m0, 0x200, s48                                   // 000000003640: 807C30FF 00000200
	buffer_load_dword v39, s[20:23], 0 offen lds               // 000000003648: E0511000 80050027
	s_add_u32 m0, 0x300, s48                                   // 000000003650: 807C30FF 00000300
	buffer_load_dword v40, s[20:23], 0 offen lds               // 000000003658: E0511000 80050028
	s_add_u32 m0, 0, s49                                       // 000000003660: 807C3180
	s_waitcnt vmcnt(4)                                         // 000000003664: BF8C0F74
	v_mfma_f32_16x16x32_fp8_fp8 v[116:119], a[96:97], a[0:1], v[116:119]// 000000003668: D3F30074 1DD20160
	v_mfma_f32_16x16x32_fp8_fp8 v[116:119], a[98:99], a[2:3], v[116:119]// 000000003670: D3F30074 1DD20562
	buffer_load_dwordx4 a[32:35], v41, s[24:27], 0 offen       // 000000003678: E05C1000 80862029
	v_mfma_f32_16x16x32_fp8_fp8 v[116:119], a[100:101], a[4:5], v[116:119]// 000000003680: D3F30074 1DD20964
	v_mfma_f32_16x16x32_fp8_fp8 v[116:119], a[102:103], a[6:7], v[116:119]// 000000003688: D3F30074 1DD20D66
	ds_read_b128 a[16:19], v2 offset:4224                      // 000000003690: DBFE1080 10000002
	ds_read_b128 a[20:23], v2 offset:4288                      // 000000003698: DBFE10C0 14000002
	v_mfma_f32_16x16x32_fp8_fp8 v[124:127], a[104:105], a[0:1], v[124:127]// 0000000036A0: D3F3007C 1DF20168
	v_mfma_f32_16x16x32_fp8_fp8 v[124:127], a[106:107], a[2:3], v[124:127]// 0000000036A8: D3F3007C 1DF2056A
	buffer_load_dwordx4 a[36:39], v41, s[24:27], 0 offen offset:1024// 0000000036B0: E05C1400 80862429
	v_mfma_f32_16x16x32_fp8_fp8 v[124:127], a[108:109], a[4:5], v[124:127]// 0000000036B8: D3F3007C 1DF2096C
	v_mfma_f32_16x16x32_fp8_fp8 v[124:127], a[110:111], a[6:7], v[124:127]// 0000000036C0: D3F3007C 1DF20D6E
	ds_read_b128 a[24:27], v2 offset:4736                      // 0000000036C8: DBFE1280 18000002
	ds_read_b128 a[28:31], v2 offset:4800                      // 0000000036D0: DBFE12C0 1C000002
	v_mfma_f32_16x16x32_fp8_fp8 v[132:135], a[112:113], a[0:1], v[132:135]// 0000000036D8: D3F30084 1E120170
	v_mfma_f32_16x16x32_fp8_fp8 v[132:135], a[114:115], a[2:3], v[132:135]// 0000000036E0: D3F30084 1E120572
	buffer_load_dwordx4 a[40:43], v42, s[24:27], 0 offen       // 0000000036E8: E05C1000 8086282A
	v_mfma_f32_16x16x32_fp8_fp8 v[132:135], a[116:117], a[4:5], v[132:135]// 0000000036F0: D3F30084 1E120974
	v_mfma_f32_16x16x32_fp8_fp8 v[132:135], a[118:119], a[6:7], v[132:135]// 0000000036F8: D3F30084 1E120D76
	v_mfma_f32_16x16x32_fp8_fp8 v[140:143], a[120:121], a[0:1], v[140:143]// 000000003700: D3F3008C 1E320178
	v_mfma_f32_16x16x32_fp8_fp8 v[140:143], a[122:123], a[2:3], v[140:143]// 000000003708: D3F3008C 1E32057A
	buffer_load_dwordx4 a[44:47], v42, s[24:27], 0 offen offset:1024// 000000003710: E05C1400 80862C2A
	v_mfma_f32_16x16x32_fp8_fp8 v[140:143], a[124:125], a[4:5], v[140:143]// 000000003718: D3F3008C 1E32097C
	v_mfma_f32_16x16x32_fp8_fp8 v[140:143], a[126:127], a[6:7], v[140:143]// 000000003720: D3F3008C 1E320D7E
	v_mfma_f32_16x16x32_fp8_fp8 v[148:151], a[128:129], a[0:1], v[148:151]// 000000003728: D3F30094 1E520180
	v_mfma_f32_16x16x32_fp8_fp8 v[148:151], a[130:131], a[2:3], v[148:151]// 000000003730: D3F30094 1E520582
	buffer_load_dwordx4 a[48:51], v43, s[24:27], 0 offen       // 000000003738: E05C1000 8086302B
	v_mfma_f32_16x16x32_fp8_fp8 v[148:151], a[132:133], a[4:5], v[148:151]// 000000003740: D3F30094 1E520984
	v_mfma_f32_16x16x32_fp8_fp8 v[148:151], a[134:135], a[6:7], v[148:151]// 000000003748: D3F30094 1E520D86
	v_mfma_f32_16x16x32_fp8_fp8 v[156:159], a[136:137], a[0:1], v[156:159]// 000000003750: D3F3009C 1E720188
	v_mfma_f32_16x16x32_fp8_fp8 v[156:159], a[138:139], a[2:3], v[156:159]// 000000003758: D3F3009C 1E72058A
	buffer_load_dwordx4 a[52:55], v43, s[24:27], 0 offen offset:1024// 000000003760: E05C1400 8086342B
	v_mfma_f32_16x16x32_fp8_fp8 v[156:159], a[140:141], a[4:5], v[156:159]// 000000003768: D3F3009C 1E72098C
	v_mfma_f32_16x16x32_fp8_fp8 v[156:159], a[142:143], a[6:7], v[156:159]// 000000003770: D3F3009C 1E720D8E
	v_mfma_f32_16x16x32_fp8_fp8 v[164:167], a[144:145], a[0:1], v[164:167]// 000000003778: D3F300A4 1E920190
	v_mfma_f32_16x16x32_fp8_fp8 v[164:167], a[146:147], a[2:3], v[164:167]// 000000003780: D3F300A4 1E920592
	buffer_load_dwordx4 a[56:59], v44, s[24:27], 0 offen       // 000000003788: E05C1000 8086382C
	v_mfma_f32_16x16x32_fp8_fp8 v[164:167], a[148:149], a[4:5], v[164:167]// 000000003790: D3F300A4 1E920994
	v_mfma_f32_16x16x32_fp8_fp8 v[164:167], a[150:151], a[6:7], v[164:167]// 000000003798: D3F300A4 1E920D96
	v_mfma_f32_16x16x32_fp8_fp8 v[172:175], a[152:153], a[0:1], v[172:175]// 0000000037A0: D3F300AC 1EB20198
	v_mfma_f32_16x16x32_fp8_fp8 v[172:175], a[154:155], a[2:3], v[172:175]// 0000000037A8: D3F300AC 1EB2059A
	buffer_load_dwordx4 a[60:63], v44, s[24:27], 0 offen offset:1024// 0000000037B0: E05C1400 80863C2C
	v_mfma_f32_16x16x32_fp8_fp8 v[172:175], a[156:157], a[4:5], v[172:175]// 0000000037B8: D3F300AC 1EB2099C
	v_mfma_f32_16x16x32_fp8_fp8 v[172:175], a[158:159], a[6:7], v[172:175]// 0000000037C0: D3F300AC 1EB20D9E
	v_mfma_f32_16x16x32_fp8_fp8 v[120:123], a[96:97], a[8:9], v[120:123]// 0000000037C8: D3F30078 1DE21160
	v_mfma_f32_16x16x32_fp8_fp8 v[120:123], a[98:99], a[10:11], v[120:123]// 0000000037D0: D3F30078 1DE21562
	buffer_load_dwordx4 a[64:67], v45, s[24:27], 0 offen       // 0000000037D8: E05C1000 8086402D
	v_mfma_f32_16x16x32_fp8_fp8 v[120:123], a[100:101], a[12:13], v[120:123]// 0000000037E0: D3F30078 1DE21964
	v_mfma_f32_16x16x32_fp8_fp8 v[120:123], a[102:103], a[14:15], v[120:123]// 0000000037E8: D3F30078 1DE21D66
	v_mfma_f32_16x16x32_fp8_fp8 v[128:131], a[104:105], a[8:9], v[128:131]// 0000000037F0: D3F30080 1E021168
	v_mfma_f32_16x16x32_fp8_fp8 v[128:131], a[106:107], a[10:11], v[128:131]// 0000000037F8: D3F30080 1E02156A
	buffer_load_dwordx4 a[68:71], v45, s[24:27], 0 offen offset:1024// 000000003800: E05C1400 8086442D
	v_mfma_f32_16x16x32_fp8_fp8 v[128:131], a[108:109], a[12:13], v[128:131]// 000000003808: D3F30080 1E02196C
	v_mfma_f32_16x16x32_fp8_fp8 v[128:131], a[110:111], a[14:15], v[128:131]// 000000003810: D3F30080 1E021D6E
	v_mfma_f32_16x16x32_fp8_fp8 v[136:139], a[112:113], a[8:9], v[136:139]// 000000003818: D3F30088 1E221170
	v_mfma_f32_16x16x32_fp8_fp8 v[136:139], a[114:115], a[10:11], v[136:139]// 000000003820: D3F30088 1E221572
	buffer_load_dwordx4 a[72:75], v46, s[24:27], 0 offen       // 000000003828: E05C1000 8086482E
	v_mfma_f32_16x16x32_fp8_fp8 v[136:139], a[116:117], a[12:13], v[136:139]// 000000003830: D3F30088 1E221974
	v_mfma_f32_16x16x32_fp8_fp8 v[136:139], a[118:119], a[14:15], v[136:139]// 000000003838: D3F30088 1E221D76
	v_mfma_f32_16x16x32_fp8_fp8 v[144:147], a[120:121], a[8:9], v[144:147]// 000000003840: D3F30090 1E421178
	v_mfma_f32_16x16x32_fp8_fp8 v[144:147], a[122:123], a[10:11], v[144:147]// 000000003848: D3F30090 1E42157A
	buffer_load_dwordx4 a[76:79], v46, s[24:27], 0 offen offset:1024// 000000003850: E05C1400 80864C2E
	v_mfma_f32_16x16x32_fp8_fp8 v[144:147], a[124:125], a[12:13], v[144:147]// 000000003858: D3F30090 1E42197C
	v_mfma_f32_16x16x32_fp8_fp8 v[144:147], a[126:127], a[14:15], v[144:147]// 000000003860: D3F30090 1E421D7E
	v_mfma_f32_16x16x32_fp8_fp8 v[152:155], a[128:129], a[8:9], v[152:155]// 000000003868: D3F30098 1E621180
	v_mfma_f32_16x16x32_fp8_fp8 v[152:155], a[130:131], a[10:11], v[152:155]// 000000003870: D3F30098 1E621582
	buffer_load_dwordx4 a[80:83], v47, s[24:27], 0 offen       // 000000003878: E05C1000 8086502F
	v_mfma_f32_16x16x32_fp8_fp8 v[152:155], a[132:133], a[12:13], v[152:155]// 000000003880: D3F30098 1E621984
	v_mfma_f32_16x16x32_fp8_fp8 v[152:155], a[134:135], a[14:15], v[152:155]// 000000003888: D3F30098 1E621D86
	v_mfma_f32_16x16x32_fp8_fp8 v[160:163], a[136:137], a[8:9], v[160:163]// 000000003890: D3F300A0 1E821188
	v_mfma_f32_16x16x32_fp8_fp8 v[160:163], a[138:139], a[10:11], v[160:163]// 000000003898: D3F300A0 1E82158A
	buffer_load_dwordx4 a[84:87], v47, s[24:27], 0 offen offset:1024// 0000000038A0: E05C1400 8086542F
	v_mfma_f32_16x16x32_fp8_fp8 v[160:163], a[140:141], a[12:13], v[160:163]// 0000000038A8: D3F300A0 1E82198C
	v_mfma_f32_16x16x32_fp8_fp8 v[160:163], a[142:143], a[14:15], v[160:163]// 0000000038B0: D3F300A0 1E821D8E
	v_mfma_f32_16x16x32_fp8_fp8 v[168:171], a[144:145], a[8:9], v[168:171]// 0000000038B8: D3F300A8 1EA21190
	v_mfma_f32_16x16x32_fp8_fp8 v[168:171], a[146:147], a[10:11], v[168:171]// 0000000038C0: D3F300A8 1EA21592
	buffer_load_dwordx4 a[88:91], v48, s[24:27], 0 offen       // 0000000038C8: E05C1000 80865830
	v_mfma_f32_16x16x32_fp8_fp8 v[168:171], a[148:149], a[12:13], v[168:171]// 0000000038D0: D3F300A8 1EA21994
	s_add_u32 s60, 0x180, s80                                  // 0000000038D8: 803C50FF 00000180
	s_cmp_lt_u32 s60, s81                                      // 0000000038E0: BF0A513C
	s_cselect_b32 s57, s57, 0                                  // 0000000038E4: 85398039
	v_mfma_f32_16x16x32_fp8_fp8 v[168:171], a[150:151], a[14:15], v[168:171]// 0000000038E8: D3F300A8 1EA21D96
	s_add_u32 s60, 0x100, s80                                  // 0000000038F0: 803C50FF 00000100
	s_cmp_lt_u32 s60, s81                                      // 0000000038F8: BF0A513C
	s_cselect_b32 s58, s58, 0                                  // 0000000038FC: 853A803A
	v_mfma_f32_16x16x32_fp8_fp8 v[176:179], a[152:153], a[8:9], v[176:179]// 000000003900: D3F300B0 1EC21198
	v_mfma_f32_16x16x32_fp8_fp8 v[176:179], a[154:155], a[10:11], v[176:179]// 000000003908: D3F300B0 1EC2159A
	buffer_load_dwordx4 a[92:95], v48, s[24:27], 0 offen offset:1024// 000000003910: E05C1400 80865C30
	s_add_u32 s20, s57, s20                                    // 000000003918: 80141439
	s_addc_u32 s21, 0, s21                                     // 00000000391C: 82151580
	v_mfma_f32_16x16x32_fp8_fp8 v[176:179], a[156:157], a[12:13], v[176:179]// 000000003920: D3F300B0 1EC2199C
	s_add_u32 s84, s83, s84                                    // 000000003928: 80545453
	s_addc_u32 s85, 0, s85                                     // 00000000392C: 82555580
	v_mfma_f32_16x16x32_fp8_fp8 v[176:179], a[158:159], a[14:15], v[176:179]// 000000003930: D3F300B0 1EC21D9E
	s_add_u32 s24, s58, s24                                    // 000000003938: 8018183A
	s_addc_u32 s25, 0, s25                                     // 00000000393C: 82191980
	s_addk_i32 s80, 0x80                                       // 000000003940: B7500080
	s_cmp_lt_i32 s80, s81                                      // 000000003944: BF045150
	s_cbranch_scc0 label_054A                                  // 000000003948: BF840177
	s_waitcnt vmcnt(14) lgkmcnt(0)                             // 00000000394C: BF8C007E
	s_barrier                                                  // 000000003950: BF8A0000
	v_mfma_f32_16x16x32_fp8_fp8 v[52:55], a[32:33], a[16:17], v[52:55]// 000000003954: D3F30034 1CD22120
	v_mfma_f32_16x16x32_fp8_fp8 v[52:55], a[34:35], a[18:19], v[52:55]// 00000000395C: D3F30034 1CD22522
	buffer_load_dwordx4 a[96:99], v41, s[84:87], 0 offen       // 000000003964: E05C1000 80956029
	v_mfma_f32_16x16x32_fp8_fp8 v[52:55], a[36:37], a[20:21], v[52:55]// 00000000396C: D3F30034 1CD22924
	v_mfma_f32_16x16x32_fp8_fp8 v[52:55], a[38:39], a[22:23], v[52:55]// 000000003974: D3F30034 1CD22D26
	v_mfma_f32_16x16x32_fp8_fp8 v[56:59], a[32:33], a[24:25], v[56:59]// 00000000397C: D3F30038 1CE23120
	v_mfma_f32_16x16x32_fp8_fp8 v[56:59], a[34:35], a[26:27], v[56:59]// 000000003984: D3F30038 1CE23522
	buffer_load_dwordx4 a[100:103], v41, s[84:87], 0 offen offset:1024// 00000000398C: E05C1400 80956429
	v_mfma_f32_16x16x32_fp8_fp8 v[56:59], a[36:37], a[28:29], v[56:59]// 000000003994: D3F30038 1CE23924
	v_mfma_f32_16x16x32_fp8_fp8 v[56:59], a[38:39], a[30:31], v[56:59]// 00000000399C: D3F30038 1CE23D26
	s_waitcnt vmcnt(14)                                        // 0000000039A4: BF8C0F7E
	v_mfma_f32_16x16x32_fp8_fp8 v[60:63], a[40:41], a[16:17], v[60:63]// 0000000039A8: D3F3003C 1CF22128
	v_mfma_f32_16x16x32_fp8_fp8 v[60:63], a[42:43], a[18:19], v[60:63]// 0000000039B0: D3F3003C 1CF2252A
	buffer_load_dwordx4 a[104:107], v42, s[84:87], 0 offen     // 0000000039B8: E05C1000 8095682A
	v_mfma_f32_16x16x32_fp8_fp8 v[60:63], a[44:45], a[20:21], v[60:63]// 0000000039C0: D3F3003C 1CF2292C
	v_mfma_f32_16x16x32_fp8_fp8 v[60:63], a[46:47], a[22:23], v[60:63]// 0000000039C8: D3F3003C 1CF22D2E
	v_mfma_f32_16x16x32_fp8_fp8 v[64:67], a[40:41], a[24:25], v[64:67]// 0000000039D0: D3F30040 1D023128
	v_mfma_f32_16x16x32_fp8_fp8 v[64:67], a[42:43], a[26:27], v[64:67]// 0000000039D8: D3F30040 1D02352A
	buffer_load_dwordx4 a[108:111], v42, s[84:87], 0 offen offset:1024// 0000000039E0: E05C1400 80956C2A
	v_mfma_f32_16x16x32_fp8_fp8 v[64:67], a[44:45], a[28:29], v[64:67]// 0000000039E8: D3F30040 1D02392C
	v_mfma_f32_16x16x32_fp8_fp8 v[64:67], a[46:47], a[30:31], v[64:67]// 0000000039F0: D3F30040 1D023D2E
	s_waitcnt vmcnt(14)                                        // 0000000039F8: BF8C0F7E
	v_mfma_f32_16x16x32_fp8_fp8 v[68:71], a[48:49], a[16:17], v[68:71]// 0000000039FC: D3F30044 1D122130
	v_mfma_f32_16x16x32_fp8_fp8 v[68:71], a[50:51], a[18:19], v[68:71]// 000000003A04: D3F30044 1D122532
	buffer_load_dwordx4 a[112:115], v43, s[84:87], 0 offen     // 000000003A0C: E05C1000 8095702B
	v_mfma_f32_16x16x32_fp8_fp8 v[68:71], a[52:53], a[20:21], v[68:71]// 000000003A14: D3F30044 1D122934
	v_mfma_f32_16x16x32_fp8_fp8 v[68:71], a[54:55], a[22:23], v[68:71]// 000000003A1C: D3F30044 1D122D36
	v_mfma_f32_16x16x32_fp8_fp8 v[72:75], a[48:49], a[24:25], v[72:75]// 000000003A24: D3F30048 1D223130
	v_mfma_f32_16x16x32_fp8_fp8 v[72:75], a[50:51], a[26:27], v[72:75]// 000000003A2C: D3F30048 1D223532
	buffer_load_dwordx4 a[116:119], v43, s[84:87], 0 offen offset:1024// 000000003A34: E05C1400 8095742B
	v_mfma_f32_16x16x32_fp8_fp8 v[72:75], a[52:53], a[28:29], v[72:75]// 000000003A3C: D3F30048 1D223934
	v_mfma_f32_16x16x32_fp8_fp8 v[72:75], a[54:55], a[30:31], v[72:75]// 000000003A44: D3F30048 1D223D36
	s_waitcnt vmcnt(14)                                        // 000000003A4C: BF8C0F7E
	v_mfma_f32_16x16x32_fp8_fp8 v[76:79], a[56:57], a[16:17], v[76:79]// 000000003A50: D3F3004C 1D322138
	v_mfma_f32_16x16x32_fp8_fp8 v[76:79], a[58:59], a[18:19], v[76:79]// 000000003A58: D3F3004C 1D32253A
	buffer_load_dwordx4 a[120:123], v44, s[84:87], 0 offen     // 000000003A60: E05C1000 8095782C
	v_mfma_f32_16x16x32_fp8_fp8 v[76:79], a[60:61], a[20:21], v[76:79]// 000000003A68: D3F3004C 1D32293C
	v_mfma_f32_16x16x32_fp8_fp8 v[76:79], a[62:63], a[22:23], v[76:79]// 000000003A70: D3F3004C 1D322D3E
	v_mfma_f32_16x16x32_fp8_fp8 v[80:83], a[56:57], a[24:25], v[80:83]// 000000003A78: D3F30050 1D423138
	v_mfma_f32_16x16x32_fp8_fp8 v[80:83], a[58:59], a[26:27], v[80:83]// 000000003A80: D3F30050 1D42353A
	buffer_load_dwordx4 a[124:127], v44, s[84:87], 0 offen offset:1024// 000000003A88: E05C1400 80957C2C
	v_mfma_f32_16x16x32_fp8_fp8 v[80:83], a[60:61], a[28:29], v[80:83]// 000000003A90: D3F30050 1D42393C
	v_mfma_f32_16x16x32_fp8_fp8 v[80:83], a[62:63], a[30:31], v[80:83]// 000000003A98: D3F30050 1D423D3E
	s_waitcnt vmcnt(14)                                        // 000000003AA0: BF8C0F7E
	v_mfma_f32_16x16x32_fp8_fp8 v[84:87], a[64:65], a[16:17], v[84:87]// 000000003AA4: D3F30054 1D522140
	v_mfma_f32_16x16x32_fp8_fp8 v[84:87], a[66:67], a[18:19], v[84:87]// 000000003AAC: D3F30054 1D522542
	buffer_load_dwordx4 a[128:131], v45, s[84:87], 0 offen     // 000000003AB4: E05C1000 8095802D
	v_mfma_f32_16x16x32_fp8_fp8 v[84:87], a[68:69], a[20:21], v[84:87]// 000000003ABC: D3F30054 1D522944
	v_mfma_f32_16x16x32_fp8_fp8 v[84:87], a[70:71], a[22:23], v[84:87]// 000000003AC4: D3F30054 1D522D46
	v_mfma_f32_16x16x32_fp8_fp8 v[88:91], a[64:65], a[24:25], v[88:91]// 000000003ACC: D3F30058 1D623140
	v_mfma_f32_16x16x32_fp8_fp8 v[88:91], a[66:67], a[26:27], v[88:91]// 000000003AD4: D3F30058 1D623542
	buffer_load_dwordx4 a[132:135], v45, s[84:87], 0 offen offset:1024// 000000003ADC: E05C1400 8095842D
	v_mfma_f32_16x16x32_fp8_fp8 v[88:91], a[68:69], a[28:29], v[88:91]// 000000003AE4: D3F30058 1D623944
	v_mfma_f32_16x16x32_fp8_fp8 v[88:91], a[70:71], a[30:31], v[88:91]// 000000003AEC: D3F30058 1D623D46
	s_waitcnt vmcnt(14)                                        // 000000003AF4: BF8C0F7E
	v_mfma_f32_16x16x32_fp8_fp8 v[92:95], a[72:73], a[16:17], v[92:95]// 000000003AF8: D3F3005C 1D722148
	v_mfma_f32_16x16x32_fp8_fp8 v[92:95], a[74:75], a[18:19], v[92:95]// 000000003B00: D3F3005C 1D72254A
	buffer_load_dwordx4 a[136:139], v46, s[84:87], 0 offen     // 000000003B08: E05C1000 8095882E
	v_mfma_f32_16x16x32_fp8_fp8 v[92:95], a[76:77], a[20:21], v[92:95]// 000000003B10: D3F3005C 1D72294C
	v_mfma_f32_16x16x32_fp8_fp8 v[92:95], a[78:79], a[22:23], v[92:95]// 000000003B18: D3F3005C 1D722D4E
	v_mfma_f32_16x16x32_fp8_fp8 v[96:99], a[72:73], a[24:25], v[96:99]// 000000003B20: D3F30060 1D823148
	v_mfma_f32_16x16x32_fp8_fp8 v[96:99], a[74:75], a[26:27], v[96:99]// 000000003B28: D3F30060 1D82354A
	buffer_load_dwordx4 a[140:143], v46, s[84:87], 0 offen offset:1024// 000000003B30: E05C1400 80958C2E
	v_mfma_f32_16x16x32_fp8_fp8 v[96:99], a[76:77], a[28:29], v[96:99]// 000000003B38: D3F30060 1D82394C
	v_mfma_f32_16x16x32_fp8_fp8 v[96:99], a[78:79], a[30:31], v[96:99]// 000000003B40: D3F30060 1D823D4E
	s_waitcnt vmcnt(14)                                        // 000000003B48: BF8C0F7E
	v_mfma_f32_16x16x32_fp8_fp8 v[100:103], a[80:81], a[16:17], v[100:103]// 000000003B4C: D3F30064 1D922150
	v_mfma_f32_16x16x32_fp8_fp8 v[100:103], a[82:83], a[18:19], v[100:103]// 000000003B54: D3F30064 1D922552
	buffer_load_dwordx4 a[144:147], v47, s[84:87], 0 offen     // 000000003B5C: E05C1000 8095902F
	v_mfma_f32_16x16x32_fp8_fp8 v[100:103], a[84:85], a[20:21], v[100:103]// 000000003B64: D3F30064 1D922954
	v_mfma_f32_16x16x32_fp8_fp8 v[100:103], a[86:87], a[22:23], v[100:103]// 000000003B6C: D3F30064 1D922D56
	v_mfma_f32_16x16x32_fp8_fp8 v[104:107], a[80:81], a[24:25], v[104:107]// 000000003B74: D3F30068 1DA23150
	v_mfma_f32_16x16x32_fp8_fp8 v[104:107], a[82:83], a[26:27], v[104:107]// 000000003B7C: D3F30068 1DA23552
	buffer_load_dwordx4 a[148:151], v47, s[84:87], 0 offen offset:1024// 000000003B84: E05C1400 8095942F
	v_mfma_f32_16x16x32_fp8_fp8 v[104:107], a[84:85], a[28:29], v[104:107]// 000000003B8C: D3F30068 1DA23954
	v_mfma_f32_16x16x32_fp8_fp8 v[104:107], a[86:87], a[30:31], v[104:107]// 000000003B94: D3F30068 1DA23D56
	s_waitcnt vmcnt(14)                                        // 000000003B9C: BF8C0F7E
	v_mfma_f32_16x16x32_fp8_fp8 v[108:111], a[88:89], a[16:17], v[108:111]// 000000003BA0: D3F3006C 1DB22158
	v_mfma_f32_16x16x32_fp8_fp8 v[108:111], a[90:91], a[18:19], v[108:111]// 000000003BA8: D3F3006C 1DB2255A
	buffer_load_dwordx4 a[152:155], v48, s[84:87], 0 offen     // 000000003BB0: E05C1000 80959830
	v_mfma_f32_16x16x32_fp8_fp8 v[108:111], a[92:93], a[20:21], v[108:111]// 000000003BB8: D3F3006C 1DB2295C
	v_mfma_f32_16x16x32_fp8_fp8 v[108:111], a[94:95], a[22:23], v[108:111]// 000000003BC0: D3F3006C 1DB22D5E
	v_mfma_f32_16x16x32_fp8_fp8 v[112:115], a[88:89], a[24:25], v[112:115]// 000000003BC8: D3F30070 1DC23158
	v_mfma_f32_16x16x32_fp8_fp8 v[112:115], a[90:91], a[26:27], v[112:115]// 000000003BD0: D3F30070 1DC2355A
	buffer_load_dwordx4 a[156:159], v48, s[84:87], 0 offen offset:1024// 000000003BD8: E05C1400 80959C30
	buffer_load_dword v37, s[20:23], 0 offen lds               // 000000003BE0: E0511000 80050025
	s_add_u32 m0, 0x100, s49                                   // 000000003BE8: 807C31FF 00000100
	s_add_u32 s60, 0x80, s80                                   // 000000003BF0: 803C50FF 00000080
	s_cmp_lt_u32 s60, s81                                      // 000000003BF8: BF0A513C
	s_cselect_b32 s83, s83, 0                                  // 000000003BFC: 85538053
	v_mfma_f32_16x16x32_fp8_fp8 v[112:115], a[92:93], a[28:29], v[112:115]// 000000003C00: D3F30070 1DC2395C
	v_mfma_f32_16x16x32_fp8_fp8 v[112:115], a[94:95], a[30:31], v[112:115]// 000000003C08: D3F30070 1DC23D5E
	buffer_load_dword v38, s[20:23], 0 offen lds               // 000000003C10: E0511000 80050026
	s_add_u32 m0, 0x200, s49                                   // 000000003C18: 807C31FF 00000200
	buffer_load_dword v39, s[20:23], 0 offen lds               // 000000003C20: E0511000 80050027
	s_add_u32 m0, 0x300, s49                                   // 000000003C28: 807C31FF 00000300
	buffer_load_dword v40, s[20:23], 0 offen lds               // 000000003C30: E0511000 80050028
	s_add_u32 m0, 0, s48                                       // 000000003C38: 807C3080
	s_waitcnt vmcnt(4)                                         // 000000003C3C: BF8C0F74
	v_mfma_f32_16x16x32_fp8_fp8 v[116:119], a[96:97], a[16:17], v[116:119]// 000000003C40: D3F30074 1DD22160
	v_mfma_f32_16x16x32_fp8_fp8 v[116:119], a[98:99], a[18:19], v[116:119]// 000000003C48: D3F30074 1DD22562
	buffer_load_dwordx4 a[32:35], v41, s[24:27], 0 offen       // 000000003C50: E05C1000 80862029
	v_mfma_f32_16x16x32_fp8_fp8 v[116:119], a[100:101], a[20:21], v[116:119]// 000000003C58: D3F30074 1DD22964
	v_mfma_f32_16x16x32_fp8_fp8 v[116:119], a[102:103], a[22:23], v[116:119]// 000000003C60: D3F30074 1DD22D66
	ds_read_b128 a[0:3], v2                                    // 000000003C68: DBFE0000 00000002
	ds_read_b128 a[4:7], v2 offset:64                          // 000000003C70: DBFE0040 04000002
	v_mfma_f32_16x16x32_fp8_fp8 v[124:127], a[104:105], a[16:17], v[124:127]// 000000003C78: D3F3007C 1DF22168
	v_mfma_f32_16x16x32_fp8_fp8 v[124:127], a[106:107], a[18:19], v[124:127]// 000000003C80: D3F3007C 1DF2256A
	buffer_load_dwordx4 a[36:39], v41, s[24:27], 0 offen offset:1024// 000000003C88: E05C1400 80862429
	v_mfma_f32_16x16x32_fp8_fp8 v[124:127], a[108:109], a[20:21], v[124:127]// 000000003C90: D3F3007C 1DF2296C
	v_mfma_f32_16x16x32_fp8_fp8 v[124:127], a[110:111], a[22:23], v[124:127]// 000000003C98: D3F3007C 1DF22D6E
	ds_read_b128 a[8:11], v2 offset:512                        // 000000003CA0: DBFE0200 08000002
	ds_read_b128 a[12:15], v2 offset:576                       // 000000003CA8: DBFE0240 0C000002
	v_mfma_f32_16x16x32_fp8_fp8 v[132:135], a[112:113], a[16:17], v[132:135]// 000000003CB0: D3F30084 1E122170
	v_mfma_f32_16x16x32_fp8_fp8 v[132:135], a[114:115], a[18:19], v[132:135]// 000000003CB8: D3F30084 1E122572
	buffer_load_dwordx4 a[40:43], v42, s[24:27], 0 offen       // 000000003CC0: E05C1000 8086282A
	v_mfma_f32_16x16x32_fp8_fp8 v[132:135], a[116:117], a[20:21], v[132:135]// 000000003CC8: D3F30084 1E122974
	v_mfma_f32_16x16x32_fp8_fp8 v[132:135], a[118:119], a[22:23], v[132:135]// 000000003CD0: D3F30084 1E122D76
	v_mfma_f32_16x16x32_fp8_fp8 v[140:143], a[120:121], a[16:17], v[140:143]// 000000003CD8: D3F3008C 1E322178
	v_mfma_f32_16x16x32_fp8_fp8 v[140:143], a[122:123], a[18:19], v[140:143]// 000000003CE0: D3F3008C 1E32257A
	buffer_load_dwordx4 a[44:47], v42, s[24:27], 0 offen offset:1024// 000000003CE8: E05C1400 80862C2A
	v_mfma_f32_16x16x32_fp8_fp8 v[140:143], a[124:125], a[20:21], v[140:143]// 000000003CF0: D3F3008C 1E32297C
	v_mfma_f32_16x16x32_fp8_fp8 v[140:143], a[126:127], a[22:23], v[140:143]// 000000003CF8: D3F3008C 1E322D7E
	v_mfma_f32_16x16x32_fp8_fp8 v[148:151], a[128:129], a[16:17], v[148:151]// 000000003D00: D3F30094 1E522180
	v_mfma_f32_16x16x32_fp8_fp8 v[148:151], a[130:131], a[18:19], v[148:151]// 000000003D08: D3F30094 1E522582
	buffer_load_dwordx4 a[48:51], v43, s[24:27], 0 offen       // 000000003D10: E05C1000 8086302B
	v_mfma_f32_16x16x32_fp8_fp8 v[148:151], a[132:133], a[20:21], v[148:151]// 000000003D18: D3F30094 1E522984
	v_mfma_f32_16x16x32_fp8_fp8 v[148:151], a[134:135], a[22:23], v[148:151]// 000000003D20: D3F30094 1E522D86
	v_mfma_f32_16x16x32_fp8_fp8 v[156:159], a[136:137], a[16:17], v[156:159]// 000000003D28: D3F3009C 1E722188
	v_mfma_f32_16x16x32_fp8_fp8 v[156:159], a[138:139], a[18:19], v[156:159]// 000000003D30: D3F3009C 1E72258A
	buffer_load_dwordx4 a[52:55], v43, s[24:27], 0 offen offset:1024// 000000003D38: E05C1400 8086342B
	v_mfma_f32_16x16x32_fp8_fp8 v[156:159], a[140:141], a[20:21], v[156:159]// 000000003D40: D3F3009C 1E72298C
	v_mfma_f32_16x16x32_fp8_fp8 v[156:159], a[142:143], a[22:23], v[156:159]// 000000003D48: D3F3009C 1E722D8E
	v_mfma_f32_16x16x32_fp8_fp8 v[164:167], a[144:145], a[16:17], v[164:167]// 000000003D50: D3F300A4 1E922190
	v_mfma_f32_16x16x32_fp8_fp8 v[164:167], a[146:147], a[18:19], v[164:167]// 000000003D58: D3F300A4 1E922592
	buffer_load_dwordx4 a[56:59], v44, s[24:27], 0 offen       // 000000003D60: E05C1000 8086382C
	v_mfma_f32_16x16x32_fp8_fp8 v[164:167], a[148:149], a[20:21], v[164:167]// 000000003D68: D3F300A4 1E922994
	v_mfma_f32_16x16x32_fp8_fp8 v[164:167], a[150:151], a[22:23], v[164:167]// 000000003D70: D3F300A4 1E922D96
	v_mfma_f32_16x16x32_fp8_fp8 v[172:175], a[152:153], a[16:17], v[172:175]// 000000003D78: D3F300AC 1EB22198
	v_mfma_f32_16x16x32_fp8_fp8 v[172:175], a[154:155], a[18:19], v[172:175]// 000000003D80: D3F300AC 1EB2259A
	buffer_load_dwordx4 a[60:63], v44, s[24:27], 0 offen offset:1024// 000000003D88: E05C1400 80863C2C
	v_mfma_f32_16x16x32_fp8_fp8 v[172:175], a[156:157], a[20:21], v[172:175]// 000000003D90: D3F300AC 1EB2299C
	v_mfma_f32_16x16x32_fp8_fp8 v[172:175], a[158:159], a[22:23], v[172:175]// 000000003D98: D3F300AC 1EB22D9E
	v_mfma_f32_16x16x32_fp8_fp8 v[120:123], a[96:97], a[24:25], v[120:123]// 000000003DA0: D3F30078 1DE23160
	v_mfma_f32_16x16x32_fp8_fp8 v[120:123], a[98:99], a[26:27], v[120:123]// 000000003DA8: D3F30078 1DE23562
	buffer_load_dwordx4 a[64:67], v45, s[24:27], 0 offen       // 000000003DB0: E05C1000 8086402D
	v_mfma_f32_16x16x32_fp8_fp8 v[120:123], a[100:101], a[28:29], v[120:123]// 000000003DB8: D3F30078 1DE23964
	v_mfma_f32_16x16x32_fp8_fp8 v[120:123], a[102:103], a[30:31], v[120:123]// 000000003DC0: D3F30078 1DE23D66
	v_mfma_f32_16x16x32_fp8_fp8 v[128:131], a[104:105], a[24:25], v[128:131]// 000000003DC8: D3F30080 1E023168
	v_mfma_f32_16x16x32_fp8_fp8 v[128:131], a[106:107], a[26:27], v[128:131]// 000000003DD0: D3F30080 1E02356A
	buffer_load_dwordx4 a[68:71], v45, s[24:27], 0 offen offset:1024// 000000003DD8: E05C1400 8086442D
	v_mfma_f32_16x16x32_fp8_fp8 v[128:131], a[108:109], a[28:29], v[128:131]// 000000003DE0: D3F30080 1E02396C
	v_mfma_f32_16x16x32_fp8_fp8 v[128:131], a[110:111], a[30:31], v[128:131]// 000000003DE8: D3F30080 1E023D6E
	v_mfma_f32_16x16x32_fp8_fp8 v[136:139], a[112:113], a[24:25], v[136:139]// 000000003DF0: D3F30088 1E223170
	v_mfma_f32_16x16x32_fp8_fp8 v[136:139], a[114:115], a[26:27], v[136:139]// 000000003DF8: D3F30088 1E223572
	buffer_load_dwordx4 a[72:75], v46, s[24:27], 0 offen       // 000000003E00: E05C1000 8086482E
	v_mfma_f32_16x16x32_fp8_fp8 v[136:139], a[116:117], a[28:29], v[136:139]// 000000003E08: D3F30088 1E223974
	v_mfma_f32_16x16x32_fp8_fp8 v[136:139], a[118:119], a[30:31], v[136:139]// 000000003E10: D3F30088 1E223D76
	v_mfma_f32_16x16x32_fp8_fp8 v[144:147], a[120:121], a[24:25], v[144:147]// 000000003E18: D3F30090 1E423178
	v_mfma_f32_16x16x32_fp8_fp8 v[144:147], a[122:123], a[26:27], v[144:147]// 000000003E20: D3F30090 1E42357A
	buffer_load_dwordx4 a[76:79], v46, s[24:27], 0 offen offset:1024// 000000003E28: E05C1400 80864C2E
	v_mfma_f32_16x16x32_fp8_fp8 v[144:147], a[124:125], a[28:29], v[144:147]// 000000003E30: D3F30090 1E42397C
	v_mfma_f32_16x16x32_fp8_fp8 v[144:147], a[126:127], a[30:31], v[144:147]// 000000003E38: D3F30090 1E423D7E
	v_mfma_f32_16x16x32_fp8_fp8 v[152:155], a[128:129], a[24:25], v[152:155]// 000000003E40: D3F30098 1E623180
	v_mfma_f32_16x16x32_fp8_fp8 v[152:155], a[130:131], a[26:27], v[152:155]// 000000003E48: D3F30098 1E623582
	buffer_load_dwordx4 a[80:83], v47, s[24:27], 0 offen       // 000000003E50: E05C1000 8086502F
	v_mfma_f32_16x16x32_fp8_fp8 v[152:155], a[132:133], a[28:29], v[152:155]// 000000003E58: D3F30098 1E623984
	v_mfma_f32_16x16x32_fp8_fp8 v[152:155], a[134:135], a[30:31], v[152:155]// 000000003E60: D3F30098 1E623D86
	v_mfma_f32_16x16x32_fp8_fp8 v[160:163], a[136:137], a[24:25], v[160:163]// 000000003E68: D3F300A0 1E823188
	v_mfma_f32_16x16x32_fp8_fp8 v[160:163], a[138:139], a[26:27], v[160:163]// 000000003E70: D3F300A0 1E82358A
	buffer_load_dwordx4 a[84:87], v47, s[24:27], 0 offen offset:1024// 000000003E78: E05C1400 8086542F
	v_mfma_f32_16x16x32_fp8_fp8 v[160:163], a[140:141], a[28:29], v[160:163]// 000000003E80: D3F300A0 1E82398C
	v_mfma_f32_16x16x32_fp8_fp8 v[160:163], a[142:143], a[30:31], v[160:163]// 000000003E88: D3F300A0 1E823D8E
	v_mfma_f32_16x16x32_fp8_fp8 v[168:171], a[144:145], a[24:25], v[168:171]// 000000003E90: D3F300A8 1EA23190
	v_mfma_f32_16x16x32_fp8_fp8 v[168:171], a[146:147], a[26:27], v[168:171]// 000000003E98: D3F300A8 1EA23592
	buffer_load_dwordx4 a[88:91], v48, s[24:27], 0 offen       // 000000003EA0: E05C1000 80865830
	v_mfma_f32_16x16x32_fp8_fp8 v[168:171], a[148:149], a[28:29], v[168:171]// 000000003EA8: D3F300A8 1EA23994
	s_add_u32 s60, 0x180, s80                                  // 000000003EB0: 803C50FF 00000180
	s_cmp_lt_u32 s60, s81                                      // 000000003EB8: BF0A513C
	s_cselect_b32 s57, s57, 0                                  // 000000003EBC: 85398039
	v_mfma_f32_16x16x32_fp8_fp8 v[168:171], a[150:151], a[30:31], v[168:171]// 000000003EC0: D3F300A8 1EA23D96
	s_add_u32 s60, 0x100, s80                                  // 000000003EC8: 803C50FF 00000100
	s_cmp_lt_u32 s60, s81                                      // 000000003ED0: BF0A513C
	s_cselect_b32 s58, s58, 0                                  // 000000003ED4: 853A803A
	v_mfma_f32_16x16x32_fp8_fp8 v[176:179], a[152:153], a[24:25], v[176:179]// 000000003ED8: D3F300B0 1EC23198
	v_mfma_f32_16x16x32_fp8_fp8 v[176:179], a[154:155], a[26:27], v[176:179]// 000000003EE0: D3F300B0 1EC2359A
	buffer_load_dwordx4 a[92:95], v48, s[24:27], 0 offen offset:1024// 000000003EE8: E05C1400 80865C30
	s_add_u32 s20, s57, s20                                    // 000000003EF0: 80141439
	s_addc_u32 s21, 0, s21                                     // 000000003EF4: 82151580
	v_mfma_f32_16x16x32_fp8_fp8 v[176:179], a[156:157], a[28:29], v[176:179]// 000000003EF8: D3F300B0 1EC2399C
	s_add_u32 s84, s83, s84                                    // 000000003F00: 80545453
	s_addc_u32 s85, 0, s85                                     // 000000003F04: 82555580
	v_mfma_f32_16x16x32_fp8_fp8 v[176:179], a[158:159], a[30:31], v[176:179]// 000000003F08: D3F300B0 1EC23D9E
	s_add_u32 s24, s58, s24                                    // 000000003F10: 8018183A
	s_addc_u32 s25, 0, s25                                     // 000000003F14: 82191980
	s_addk_i32 s80, 0x80                                       // 000000003F18: B7500080
	s_cmp_lt_i32 s80, s81                                      // 000000003F1C: BF045150
	s_cbranch_scc0 label_054A                                  // 000000003F20: BF840001
	s_branch label_025D                                        // 000000003F24: BF82FD13

0000000000003f28 <label_054A>:
	v_mul_f32_dpp v52, v25, v52 row_newbcast:0 row_mask:0xf bank_mask:0xf// 000000003F28: 0A6868FA FF015019
	v_mul_f32_dpp v53, v25, v53 row_newbcast:1 row_mask:0xf bank_mask:0xf// 000000003F30: 0A6A6AFA FF015119
	v_mul_f32_dpp v54, v25, v54 row_newbcast:2 row_mask:0xf bank_mask:0xf// 000000003F38: 0A6C6CFA FF015219
	v_mul_f32_dpp v55, v25, v55 row_newbcast:3 row_mask:0xf bank_mask:0xf// 000000003F40: 0A6E6EFA FF015319
	v_mul_f32_dpp v56, v25, v56 row_newbcast:0 row_mask:0xf bank_mask:0xf// 000000003F48: 0A7070FA FF015019
	v_mul_f32_dpp v57, v25, v57 row_newbcast:1 row_mask:0xf bank_mask:0xf// 000000003F50: 0A7272FA FF015119
	v_mul_f32_dpp v58, v25, v58 row_newbcast:2 row_mask:0xf bank_mask:0xf// 000000003F58: 0A7474FA FF015219
	v_mul_f32_dpp v59, v25, v59 row_newbcast:3 row_mask:0xf bank_mask:0xf// 000000003F60: 0A7676FA FF015319
	v_mul_f32_dpp v60, v25, v60 row_newbcast:4 row_mask:0xf bank_mask:0xf// 000000003F68: 0A7878FA FF015419
	v_mul_f32_dpp v61, v25, v61 row_newbcast:5 row_mask:0xf bank_mask:0xf// 000000003F70: 0A7A7AFA FF015519
	v_mul_f32_dpp v62, v25, v62 row_newbcast:6 row_mask:0xf bank_mask:0xf// 000000003F78: 0A7C7CFA FF015619
	v_mul_f32_dpp v63, v25, v63 row_newbcast:7 row_mask:0xf bank_mask:0xf// 000000003F80: 0A7E7EFA FF015719
	v_mul_f32_dpp v64, v25, v64 row_newbcast:4 row_mask:0xf bank_mask:0xf// 000000003F88: 0A8080FA FF015419
	v_mul_f32_dpp v65, v25, v65 row_newbcast:5 row_mask:0xf bank_mask:0xf// 000000003F90: 0A8282FA FF015519
	v_mul_f32_dpp v66, v25, v66 row_newbcast:6 row_mask:0xf bank_mask:0xf// 000000003F98: 0A8484FA FF015619
	v_mul_f32_dpp v67, v25, v67 row_newbcast:7 row_mask:0xf bank_mask:0xf// 000000003FA0: 0A8686FA FF015719
	v_mul_f32_dpp v68, v25, v68 row_newbcast:8 row_mask:0xf bank_mask:0xf// 000000003FA8: 0A8888FA FF015819
	v_mul_f32_dpp v69, v25, v69 row_newbcast:9 row_mask:0xf bank_mask:0xf// 000000003FB0: 0A8A8AFA FF015919
	v_mul_f32_dpp v70, v25, v70 row_newbcast:10 row_mask:0xf bank_mask:0xf// 000000003FB8: 0A8C8CFA FF015A19
	v_mul_f32_dpp v71, v25, v71 row_newbcast:11 row_mask:0xf bank_mask:0xf// 000000003FC0: 0A8E8EFA FF015B19
	v_mul_f32_dpp v72, v25, v72 row_newbcast:8 row_mask:0xf bank_mask:0xf// 000000003FC8: 0A9090FA FF015819
	v_mul_f32_dpp v73, v25, v73 row_newbcast:9 row_mask:0xf bank_mask:0xf// 000000003FD0: 0A9292FA FF015919
	v_mul_f32_dpp v74, v25, v74 row_newbcast:10 row_mask:0xf bank_mask:0xf// 000000003FD8: 0A9494FA FF015A19
	v_mul_f32_dpp v75, v25, v75 row_newbcast:11 row_mask:0xf bank_mask:0xf// 000000003FE0: 0A9696FA FF015B19
	v_mul_f32_dpp v76, v25, v76 row_newbcast:12 row_mask:0xf bank_mask:0xf// 000000003FE8: 0A9898FA FF015C19
	v_mul_f32_dpp v77, v25, v77 row_newbcast:13 row_mask:0xf bank_mask:0xf// 000000003FF0: 0A9A9AFA FF015D19
	v_mul_f32_dpp v78, v25, v78 row_newbcast:14 row_mask:0xf bank_mask:0xf// 000000003FF8: 0A9C9CFA FF015E19
	v_mul_f32_dpp v79, v25, v79 row_newbcast:15 row_mask:0xf bank_mask:0xf// 000000004000: 0A9E9EFA FF015F19
	v_mul_f32_dpp v80, v25, v80 row_newbcast:12 row_mask:0xf bank_mask:0xf// 000000004008: 0AA0A0FA FF015C19
	v_mul_f32_dpp v81, v25, v81 row_newbcast:13 row_mask:0xf bank_mask:0xf// 000000004010: 0AA2A2FA FF015D19
	v_mul_f32_dpp v82, v25, v82 row_newbcast:14 row_mask:0xf bank_mask:0xf// 000000004018: 0AA4A4FA FF015E19
	v_mul_f32_dpp v83, v25, v83 row_newbcast:15 row_mask:0xf bank_mask:0xf// 000000004020: 0AA6A6FA FF015F19
	v_mul_f32_dpp v84, v26, v84 row_newbcast:0 row_mask:0xf bank_mask:0xf// 000000004028: 0AA8A8FA FF01501A
	v_mul_f32_dpp v85, v26, v85 row_newbcast:1 row_mask:0xf bank_mask:0xf// 000000004030: 0AAAAAFA FF01511A
	v_mul_f32_dpp v86, v26, v86 row_newbcast:2 row_mask:0xf bank_mask:0xf// 000000004038: 0AACACFA FF01521A
	v_mul_f32_dpp v87, v26, v87 row_newbcast:3 row_mask:0xf bank_mask:0xf// 000000004040: 0AAEAEFA FF01531A
	v_mul_f32_dpp v88, v26, v88 row_newbcast:0 row_mask:0xf bank_mask:0xf// 000000004048: 0AB0B0FA FF01501A
	v_mul_f32_dpp v89, v26, v89 row_newbcast:1 row_mask:0xf bank_mask:0xf// 000000004050: 0AB2B2FA FF01511A
	v_mul_f32_dpp v90, v26, v90 row_newbcast:2 row_mask:0xf bank_mask:0xf// 000000004058: 0AB4B4FA FF01521A
	v_mul_f32_dpp v91, v26, v91 row_newbcast:3 row_mask:0xf bank_mask:0xf// 000000004060: 0AB6B6FA FF01531A
	v_mul_f32_dpp v92, v26, v92 row_newbcast:4 row_mask:0xf bank_mask:0xf// 000000004068: 0AB8B8FA FF01541A
	v_mul_f32_dpp v93, v26, v93 row_newbcast:5 row_mask:0xf bank_mask:0xf// 000000004070: 0ABABAFA FF01551A
	v_mul_f32_dpp v94, v26, v94 row_newbcast:6 row_mask:0xf bank_mask:0xf// 000000004078: 0ABCBCFA FF01561A
	v_mul_f32_dpp v95, v26, v95 row_newbcast:7 row_mask:0xf bank_mask:0xf// 000000004080: 0ABEBEFA FF01571A
	v_mul_f32_dpp v96, v26, v96 row_newbcast:4 row_mask:0xf bank_mask:0xf// 000000004088: 0AC0C0FA FF01541A
	v_mul_f32_dpp v97, v26, v97 row_newbcast:5 row_mask:0xf bank_mask:0xf// 000000004090: 0AC2C2FA FF01551A
	v_mul_f32_dpp v98, v26, v98 row_newbcast:6 row_mask:0xf bank_mask:0xf// 000000004098: 0AC4C4FA FF01561A
	v_mul_f32_dpp v99, v26, v99 row_newbcast:7 row_mask:0xf bank_mask:0xf// 0000000040A0: 0AC6C6FA FF01571A
	v_mul_f32_dpp v100, v26, v100 row_newbcast:8 row_mask:0xf bank_mask:0xf// 0000000040A8: 0AC8C8FA FF01581A
	v_mul_f32_dpp v101, v26, v101 row_newbcast:9 row_mask:0xf bank_mask:0xf// 0000000040B0: 0ACACAFA FF01591A
	v_mul_f32_dpp v102, v26, v102 row_newbcast:10 row_mask:0xf bank_mask:0xf// 0000000040B8: 0ACCCCFA FF015A1A
	v_mul_f32_dpp v103, v26, v103 row_newbcast:11 row_mask:0xf bank_mask:0xf// 0000000040C0: 0ACECEFA FF015B1A
	v_mul_f32_dpp v104, v26, v104 row_newbcast:8 row_mask:0xf bank_mask:0xf// 0000000040C8: 0AD0D0FA FF01581A
	v_mul_f32_dpp v105, v26, v105 row_newbcast:9 row_mask:0xf bank_mask:0xf// 0000000040D0: 0AD2D2FA FF01591A
	v_mul_f32_dpp v106, v26, v106 row_newbcast:10 row_mask:0xf bank_mask:0xf// 0000000040D8: 0AD4D4FA FF015A1A
	v_mul_f32_dpp v107, v26, v107 row_newbcast:11 row_mask:0xf bank_mask:0xf// 0000000040E0: 0AD6D6FA FF015B1A
	v_mul_f32_dpp v108, v26, v108 row_newbcast:12 row_mask:0xf bank_mask:0xf// 0000000040E8: 0AD8D8FA FF015C1A
	v_mul_f32_dpp v109, v26, v109 row_newbcast:13 row_mask:0xf bank_mask:0xf// 0000000040F0: 0ADADAFA FF015D1A
	v_mul_f32_dpp v110, v26, v110 row_newbcast:14 row_mask:0xf bank_mask:0xf// 0000000040F8: 0ADCDCFA FF015E1A
	v_mul_f32_dpp v111, v26, v111 row_newbcast:15 row_mask:0xf bank_mask:0xf// 000000004100: 0ADEDEFA FF015F1A
	v_mul_f32_dpp v112, v26, v112 row_newbcast:12 row_mask:0xf bank_mask:0xf// 000000004108: 0AE0E0FA FF015C1A
	v_mul_f32_dpp v113, v26, v113 row_newbcast:13 row_mask:0xf bank_mask:0xf// 000000004110: 0AE2E2FA FF015D1A
	v_mul_f32_dpp v114, v26, v114 row_newbcast:14 row_mask:0xf bank_mask:0xf// 000000004118: 0AE4E4FA FF015E1A
	v_mul_f32_dpp v115, v26, v115 row_newbcast:15 row_mask:0xf bank_mask:0xf// 000000004120: 0AE6E6FA FF015F1A
	v_mul_f32_dpp v116, v27, v116 row_newbcast:0 row_mask:0xf bank_mask:0xf// 000000004128: 0AE8E8FA FF01501B
	v_mul_f32_dpp v117, v27, v117 row_newbcast:1 row_mask:0xf bank_mask:0xf// 000000004130: 0AEAEAFA FF01511B
	v_mul_f32_dpp v118, v27, v118 row_newbcast:2 row_mask:0xf bank_mask:0xf// 000000004138: 0AECECFA FF01521B
	v_mul_f32_dpp v119, v27, v119 row_newbcast:3 row_mask:0xf bank_mask:0xf// 000000004140: 0AEEEEFA FF01531B
	v_mul_f32_dpp v120, v27, v120 row_newbcast:0 row_mask:0xf bank_mask:0xf// 000000004148: 0AF0F0FA FF01501B
	v_mul_f32_dpp v121, v27, v121 row_newbcast:1 row_mask:0xf bank_mask:0xf// 000000004150: 0AF2F2FA FF01511B
	v_mul_f32_dpp v122, v27, v122 row_newbcast:2 row_mask:0xf bank_mask:0xf// 000000004158: 0AF4F4FA FF01521B
	v_mul_f32_dpp v123, v27, v123 row_newbcast:3 row_mask:0xf bank_mask:0xf// 000000004160: 0AF6F6FA FF01531B
	v_mul_f32_dpp v124, v27, v124 row_newbcast:4 row_mask:0xf bank_mask:0xf// 000000004168: 0AF8F8FA FF01541B
	v_mul_f32_dpp v125, v27, v125 row_newbcast:5 row_mask:0xf bank_mask:0xf// 000000004170: 0AFAFAFA FF01551B
	v_mul_f32_dpp v126, v27, v126 row_newbcast:6 row_mask:0xf bank_mask:0xf// 000000004178: 0AFCFCFA FF01561B
	v_mul_f32_dpp v127, v27, v127 row_newbcast:7 row_mask:0xf bank_mask:0xf// 000000004180: 0AFEFEFA FF01571B
	v_mul_f32_dpp v128, v27, v128 row_newbcast:4 row_mask:0xf bank_mask:0xf// 000000004188: 0B0100FA FF01541B
	v_mul_f32_dpp v129, v27, v129 row_newbcast:5 row_mask:0xf bank_mask:0xf// 000000004190: 0B0302FA FF01551B
	v_mul_f32_dpp v130, v27, v130 row_newbcast:6 row_mask:0xf bank_mask:0xf// 000000004198: 0B0504FA FF01561B
	v_mul_f32_dpp v131, v27, v131 row_newbcast:7 row_mask:0xf bank_mask:0xf// 0000000041A0: 0B0706FA FF01571B
	v_mul_f32_dpp v132, v27, v132 row_newbcast:8 row_mask:0xf bank_mask:0xf// 0000000041A8: 0B0908FA FF01581B
	v_mul_f32_dpp v133, v27, v133 row_newbcast:9 row_mask:0xf bank_mask:0xf// 0000000041B0: 0B0B0AFA FF01591B
	v_mul_f32_dpp v134, v27, v134 row_newbcast:10 row_mask:0xf bank_mask:0xf// 0000000041B8: 0B0D0CFA FF015A1B
	v_mul_f32_dpp v135, v27, v135 row_newbcast:11 row_mask:0xf bank_mask:0xf// 0000000041C0: 0B0F0EFA FF015B1B
	v_mul_f32_dpp v136, v27, v136 row_newbcast:8 row_mask:0xf bank_mask:0xf// 0000000041C8: 0B1110FA FF01581B
	v_mul_f32_dpp v137, v27, v137 row_newbcast:9 row_mask:0xf bank_mask:0xf// 0000000041D0: 0B1312FA FF01591B
	v_mul_f32_dpp v138, v27, v138 row_newbcast:10 row_mask:0xf bank_mask:0xf// 0000000041D8: 0B1514FA FF015A1B
	v_mul_f32_dpp v139, v27, v139 row_newbcast:11 row_mask:0xf bank_mask:0xf// 0000000041E0: 0B1716FA FF015B1B
	v_mul_f32_dpp v140, v27, v140 row_newbcast:12 row_mask:0xf bank_mask:0xf// 0000000041E8: 0B1918FA FF015C1B
	v_mul_f32_dpp v141, v27, v141 row_newbcast:13 row_mask:0xf bank_mask:0xf// 0000000041F0: 0B1B1AFA FF015D1B
	v_mul_f32_dpp v142, v27, v142 row_newbcast:14 row_mask:0xf bank_mask:0xf// 0000000041F8: 0B1D1CFA FF015E1B
	v_mul_f32_dpp v143, v27, v143 row_newbcast:15 row_mask:0xf bank_mask:0xf// 000000004200: 0B1F1EFA FF015F1B
	v_mul_f32_dpp v144, v27, v144 row_newbcast:12 row_mask:0xf bank_mask:0xf// 000000004208: 0B2120FA FF015C1B
	v_mul_f32_dpp v145, v27, v145 row_newbcast:13 row_mask:0xf bank_mask:0xf// 000000004210: 0B2322FA FF015D1B
	v_mul_f32_dpp v146, v27, v146 row_newbcast:14 row_mask:0xf bank_mask:0xf// 000000004218: 0B2524FA FF015E1B
	v_mul_f32_dpp v147, v27, v147 row_newbcast:15 row_mask:0xf bank_mask:0xf// 000000004220: 0B2726FA FF015F1B
	v_mul_f32_dpp v148, v28, v148 row_newbcast:0 row_mask:0xf bank_mask:0xf// 000000004228: 0B2928FA FF01501C
	v_mul_f32_dpp v149, v28, v149 row_newbcast:1 row_mask:0xf bank_mask:0xf// 000000004230: 0B2B2AFA FF01511C
	v_mul_f32_dpp v150, v28, v150 row_newbcast:2 row_mask:0xf bank_mask:0xf// 000000004238: 0B2D2CFA FF01521C
	v_mul_f32_dpp v151, v28, v151 row_newbcast:3 row_mask:0xf bank_mask:0xf// 000000004240: 0B2F2EFA FF01531C
	v_mul_f32_dpp v152, v28, v152 row_newbcast:0 row_mask:0xf bank_mask:0xf// 000000004248: 0B3130FA FF01501C
	v_mul_f32_dpp v153, v28, v153 row_newbcast:1 row_mask:0xf bank_mask:0xf// 000000004250: 0B3332FA FF01511C
	v_mul_f32_dpp v154, v28, v154 row_newbcast:2 row_mask:0xf bank_mask:0xf// 000000004258: 0B3534FA FF01521C
	v_mul_f32_dpp v155, v28, v155 row_newbcast:3 row_mask:0xf bank_mask:0xf// 000000004260: 0B3736FA FF01531C
	v_mul_f32_dpp v156, v28, v156 row_newbcast:4 row_mask:0xf bank_mask:0xf// 000000004268: 0B3938FA FF01541C
	v_mul_f32_dpp v157, v28, v157 row_newbcast:5 row_mask:0xf bank_mask:0xf// 000000004270: 0B3B3AFA FF01551C
	v_mul_f32_dpp v158, v28, v158 row_newbcast:6 row_mask:0xf bank_mask:0xf// 000000004278: 0B3D3CFA FF01561C
	v_mul_f32_dpp v159, v28, v159 row_newbcast:7 row_mask:0xf bank_mask:0xf// 000000004280: 0B3F3EFA FF01571C
	v_mul_f32_dpp v160, v28, v160 row_newbcast:4 row_mask:0xf bank_mask:0xf// 000000004288: 0B4140FA FF01541C
	v_mul_f32_dpp v161, v28, v161 row_newbcast:5 row_mask:0xf bank_mask:0xf// 000000004290: 0B4342FA FF01551C
	v_mul_f32_dpp v162, v28, v162 row_newbcast:6 row_mask:0xf bank_mask:0xf// 000000004298: 0B4544FA FF01561C
	v_mul_f32_dpp v163, v28, v163 row_newbcast:7 row_mask:0xf bank_mask:0xf// 0000000042A0: 0B4746FA FF01571C
	v_mul_f32_dpp v164, v28, v164 row_newbcast:8 row_mask:0xf bank_mask:0xf// 0000000042A8: 0B4948FA FF01581C
	v_mul_f32_dpp v165, v28, v165 row_newbcast:9 row_mask:0xf bank_mask:0xf// 0000000042B0: 0B4B4AFA FF01591C
	v_mul_f32_dpp v166, v28, v166 row_newbcast:10 row_mask:0xf bank_mask:0xf// 0000000042B8: 0B4D4CFA FF015A1C
	v_mul_f32_dpp v167, v28, v167 row_newbcast:11 row_mask:0xf bank_mask:0xf// 0000000042C0: 0B4F4EFA FF015B1C
	v_mul_f32_dpp v168, v28, v168 row_newbcast:8 row_mask:0xf bank_mask:0xf// 0000000042C8: 0B5150FA FF01581C
	v_mul_f32_dpp v169, v28, v169 row_newbcast:9 row_mask:0xf bank_mask:0xf// 0000000042D0: 0B5352FA FF01591C
	v_mul_f32_dpp v170, v28, v170 row_newbcast:10 row_mask:0xf bank_mask:0xf// 0000000042D8: 0B5554FA FF015A1C
	v_mul_f32_dpp v171, v28, v171 row_newbcast:11 row_mask:0xf bank_mask:0xf// 0000000042E0: 0B5756FA FF015B1C
	v_mul_f32_dpp v172, v28, v172 row_newbcast:12 row_mask:0xf bank_mask:0xf// 0000000042E8: 0B5958FA FF015C1C
	v_mul_f32_dpp v173, v28, v173 row_newbcast:13 row_mask:0xf bank_mask:0xf// 0000000042F0: 0B5B5AFA FF015D1C
	v_mul_f32_dpp v174, v28, v174 row_newbcast:14 row_mask:0xf bank_mask:0xf// 0000000042F8: 0B5D5CFA FF015E1C
	v_mul_f32_dpp v175, v28, v175 row_newbcast:15 row_mask:0xf bank_mask:0xf// 000000004300: 0B5F5EFA FF015F1C
	v_mul_f32_dpp v176, v28, v176 row_newbcast:12 row_mask:0xf bank_mask:0xf// 000000004308: 0B6160FA FF015C1C
	v_mul_f32_dpp v177, v28, v177 row_newbcast:13 row_mask:0xf bank_mask:0xf// 000000004310: 0B6362FA FF015D1C
	v_mul_f32_dpp v178, v28, v178 row_newbcast:14 row_mask:0xf bank_mask:0xf// 000000004318: 0B6564FA FF015E1C
	v_mul_f32_dpp v179, v28, v179 row_newbcast:15 row_mask:0xf bank_mask:0xf// 000000004320: 0B6766FA FF015F1C
	v_mul_f32_e32 v31, v31, v180                               // 000000004328: 0A3F691F
	v_mov_b32_e32 v4, v31                                      // 00000000432C: 7E08031F
	v_mov_b32_e32 v5, v4                                       // 000000004330: 7E0A0304
	v_pk_mul_f32 v[52:53], v[4:5], v[52:53]                    // 000000004334: D3B14034 18026904
	v_pk_mul_f32 v[116:117], v[4:5], v[116:117]                // 00000000433C: D3B14074 1802E904
	v_pk_mul_f32 v[54:55], v[4:5], v[54:55]                    // 000000004344: D3B14036 18026D04
	v_pk_mul_f32 v[118:119], v[4:5], v[118:119]                // 00000000434C: D3B14076 1802ED04
	v_pk_mul_f32 v[60:61], v[4:5], v[60:61]                    // 000000004354: D3B1403C 18027904
	v_pk_mul_f32 v[124:125], v[4:5], v[124:125]                // 00000000435C: D3B1407C 1802F904
	v_pk_mul_f32 v[62:63], v[4:5], v[62:63]                    // 000000004364: D3B1403E 18027D04
	v_pk_mul_f32 v[126:127], v[4:5], v[126:127]                // 00000000436C: D3B1407E 1802FD04
	v_pk_mul_f32 v[68:69], v[4:5], v[68:69]                    // 000000004374: D3B14044 18028904
	v_pk_mul_f32 v[132:133], v[4:5], v[132:133]                // 00000000437C: D3B14084 18030904
	v_pk_mul_f32 v[70:71], v[4:5], v[70:71]                    // 000000004384: D3B14046 18028D04
	v_pk_mul_f32 v[134:135], v[4:5], v[134:135]                // 00000000438C: D3B14086 18030D04
	v_pk_mul_f32 v[76:77], v[4:5], v[76:77]                    // 000000004394: D3B1404C 18029904
	v_pk_mul_f32 v[140:141], v[4:5], v[140:141]                // 00000000439C: D3B1408C 18031904
	v_pk_mul_f32 v[78:79], v[4:5], v[78:79]                    // 0000000043A4: D3B1404E 18029D04
	v_pk_mul_f32 v[142:143], v[4:5], v[142:143]                // 0000000043AC: D3B1408E 18031D04
	v_pk_mul_f32 v[84:85], v[4:5], v[84:85]                    // 0000000043B4: D3B14054 1802A904
	v_pk_mul_f32 v[148:149], v[4:5], v[148:149]                // 0000000043BC: D3B14094 18032904
	v_pk_mul_f32 v[86:87], v[4:5], v[86:87]                    // 0000000043C4: D3B14056 1802AD04
	v_pk_mul_f32 v[150:151], v[4:5], v[150:151]                // 0000000043CC: D3B14096 18032D04
	v_pk_mul_f32 v[92:93], v[4:5], v[92:93]                    // 0000000043D4: D3B1405C 1802B904
	v_pk_mul_f32 v[156:157], v[4:5], v[156:157]                // 0000000043DC: D3B1409C 18033904
	v_pk_mul_f32 v[94:95], v[4:5], v[94:95]                    // 0000000043E4: D3B1405E 1802BD04
	v_pk_mul_f32 v[158:159], v[4:5], v[158:159]                // 0000000043EC: D3B1409E 18033D04
	v_pk_mul_f32 v[100:101], v[4:5], v[100:101]                // 0000000043F4: D3B14064 1802C904
	v_pk_mul_f32 v[164:165], v[4:5], v[164:165]                // 0000000043FC: D3B140A4 18034904
	v_pk_mul_f32 v[102:103], v[4:5], v[102:103]                // 000000004404: D3B14066 1802CD04
	v_pk_mul_f32 v[166:167], v[4:5], v[166:167]                // 00000000440C: D3B140A6 18034D04
	v_pk_mul_f32 v[108:109], v[4:5], v[108:109]                // 000000004414: D3B1406C 1802D904
	v_pk_mul_f32 v[172:173], v[4:5], v[172:173]                // 00000000441C: D3B140AC 18035904
	v_pk_mul_f32 v[110:111], v[4:5], v[110:111]                // 000000004424: D3B1406E 1802DD04
	v_pk_mul_f32 v[174:175], v[4:5], v[174:175]                // 00000000442C: D3B140AE 18035D04
	v_mul_f32_e32 v32, v32, v181                               // 000000004434: 0A416B20
	v_mov_b32_e32 v4, v32                                      // 000000004438: 7E080320
	v_mov_b32_e32 v5, v4                                       // 00000000443C: 7E0A0304
	v_pk_mul_f32 v[56:57], v[4:5], v[56:57]                    // 000000004440: D3B14038 18027104
	v_pk_mul_f32 v[120:121], v[4:5], v[120:121]                // 000000004448: D3B14078 1802F104
	v_pk_mul_f32 v[58:59], v[4:5], v[58:59]                    // 000000004450: D3B1403A 18027504
	v_pk_mul_f32 v[122:123], v[4:5], v[122:123]                // 000000004458: D3B1407A 1802F504
	v_pk_mul_f32 v[64:65], v[4:5], v[64:65]                    // 000000004460: D3B14040 18028104
	v_pk_mul_f32 v[128:129], v[4:5], v[128:129]                // 000000004468: D3B14080 18030104
	v_pk_mul_f32 v[66:67], v[4:5], v[66:67]                    // 000000004470: D3B14042 18028504
	v_pk_mul_f32 v[130:131], v[4:5], v[130:131]                // 000000004478: D3B14082 18030504
	v_pk_mul_f32 v[72:73], v[4:5], v[72:73]                    // 000000004480: D3B14048 18029104
	v_pk_mul_f32 v[136:137], v[4:5], v[136:137]                // 000000004488: D3B14088 18031104
	v_pk_mul_f32 v[74:75], v[4:5], v[74:75]                    // 000000004490: D3B1404A 18029504
	v_pk_mul_f32 v[138:139], v[4:5], v[138:139]                // 000000004498: D3B1408A 18031504
	v_pk_mul_f32 v[80:81], v[4:5], v[80:81]                    // 0000000044A0: D3B14050 1802A104
	v_pk_mul_f32 v[144:145], v[4:5], v[144:145]                // 0000000044A8: D3B14090 18032104
	v_pk_mul_f32 v[82:83], v[4:5], v[82:83]                    // 0000000044B0: D3B14052 1802A504
	v_pk_mul_f32 v[146:147], v[4:5], v[146:147]                // 0000000044B8: D3B14092 18032504
	v_pk_mul_f32 v[88:89], v[4:5], v[88:89]                    // 0000000044C0: D3B14058 1802B104
	v_pk_mul_f32 v[152:153], v[4:5], v[152:153]                // 0000000044C8: D3B14098 18033104
	v_pk_mul_f32 v[90:91], v[4:5], v[90:91]                    // 0000000044D0: D3B1405A 1802B504
	v_pk_mul_f32 v[154:155], v[4:5], v[154:155]                // 0000000044D8: D3B1409A 18033504
	v_pk_mul_f32 v[96:97], v[4:5], v[96:97]                    // 0000000044E0: D3B14060 1802C104
	v_pk_mul_f32 v[160:161], v[4:5], v[160:161]                // 0000000044E8: D3B140A0 18034104
	v_pk_mul_f32 v[98:99], v[4:5], v[98:99]                    // 0000000044F0: D3B14062 1802C504
	v_pk_mul_f32 v[162:163], v[4:5], v[162:163]                // 0000000044F8: D3B140A2 18034504
	v_pk_mul_f32 v[104:105], v[4:5], v[104:105]                // 000000004500: D3B14068 1802D104
	v_pk_mul_f32 v[168:169], v[4:5], v[168:169]                // 000000004508: D3B140A8 18035104
	v_pk_mul_f32 v[106:107], v[4:5], v[106:107]                // 000000004510: D3B1406A 1802D504
	v_pk_mul_f32 v[170:171], v[4:5], v[170:171]                // 000000004518: D3B140AA 18035504
	v_pk_mul_f32 v[112:113], v[4:5], v[112:113]                // 000000004520: D3B14070 1802E104
	v_pk_mul_f32 v[176:177], v[4:5], v[176:177]                // 000000004528: D3B140B0 18036104
	v_pk_mul_f32 v[114:115], v[4:5], v[114:115]                // 000000004530: D3B14072 1802E504
	v_pk_mul_f32 v[178:179], v[4:5], v[178:179]                // 000000004538: D3B140B2 18036504
	s_cmp_eq_u32 s88, 0                                        // 000000004540: BF068058
	s_cbranch_scc0 label_0E6B                                  // 000000004544: BF840799
	s_cmp_eq_u32 s89, 0                                        // 000000004548: BF068059
	s_cbranch_scc1 label_0959                                  // 00000000454C: BF850285
	v_mov_b32_e32 v8, v1                                       // 000000004550: 7E100301
	v_mov_b32_e32 v9, v1                                       // 000000004554: 7E120301
	s_mov_b32 s60, s6                                          // 000000004558: BEBC0006
	s_mov_b32 s61, s6                                          // 00000000455C: BEBD0006
	v_pk_mul_f32 v[4:5], v[52:53], v[52:53]                    // 000000004560: D3B14004 18026934
	v_pk_mul_f32 v[6:7], v[54:55], v[54:55]                    // 000000004568: D3B14006 18026D36
	v_pk_fma_f32 v[4:5], v[4:5], s[78:79], v[8:9]              // 000000004570: D3B04004 1C209D04
	v_pk_fma_f32 v[6:7], v[6:7], s[78:79], v[8:9]              // 000000004578: D3B04006 1C209D06
	v_pk_mul_f32 v[4:5], v[4:5], v[52:53]                      // 000000004580: D3B14004 18026904
	v_pk_mul_f32 v[6:7], v[6:7], v[54:55]                      // 000000004588: D3B14006 18026D06
	v_pk_mul_f32 v[4:5], v[4:5], s[60:61]                      // 000000004590: D3B14004 18007904
	v_pk_mul_f32 v[6:7], v[6:7], s[60:61]                      // 000000004598: D3B14006 18007906
	v_exp_f32_e32 v4, v4                                       // 0000000045A0: 7E084104
	v_exp_f32_e32 v5, v5                                       // 0000000045A4: 7E0A4105
	v_exp_f32_e32 v6, v6                                       // 0000000045A8: 7E0C4106
	v_exp_f32_e32 v7, v7                                       // 0000000045AC: 7E0E4107
	v_add_f32_e64 v4, v4, 1.0                                  // 0000000045B0: D1010004 0001E504
	v_add_f32_e64 v5, v5, 1.0                                  // 0000000045B8: D1010005 0001E505
	v_add_f32_e64 v6, v6, 1.0                                  // 0000000045C0: D1010006 0001E506
	v_add_f32_e64 v7, v7, 1.0                                  // 0000000045C8: D1010007 0001E507
	v_rcp_f32_e32 v4, v4                                       // 0000000045D0: 7E084504
	v_rcp_f32_e32 v5, v5                                       // 0000000045D4: 7E0A4505
	v_rcp_f32_e32 v6, v6                                       // 0000000045D8: 7E0C4506
	v_rcp_f32_e32 v7, v7                                       // 0000000045DC: 7E0E4507
	v_mul_f32_e32 v52, v52, v4                                 // 0000000045E0: 0A680934
	v_mul_f32_e32 v53, v53, v5                                 // 0000000045E4: 0A6A0B35
	v_mul_f32_e32 v54, v54, v6                                 // 0000000045E8: 0A6C0D36
	v_mul_f32_e32 v55, v55, v7                                 // 0000000045EC: 0A6E0F37
	v_mul_f32_e32 v52, v52, v116                               // 0000000045F0: 0A68E934
	v_mul_f32_e32 v53, v53, v117                               // 0000000045F4: 0A6AEB35
	v_mul_f32_e32 v54, v54, v118                               // 0000000045F8: 0A6CED36
	v_mul_f32_e32 v55, v55, v119                               // 0000000045FC: 0A6EEF37
	v_pk_mul_f32 v[4:5], v[56:57], v[56:57]                    // 000000004600: D3B14004 18027138
	v_pk_mul_f32 v[6:7], v[58:59], v[58:59]                    // 000000004608: D3B14006 1802753A
	v_pk_fma_f32 v[4:5], v[4:5], s[78:79], v[8:9]              // 000000004610: D3B04004 1C209D04
	v_pk_fma_f32 v[6:7], v[6:7], s[78:79], v[8:9]              // 000000004618: D3B04006 1C209D06
	v_pk_mul_f32 v[4:5], v[4:5], v[56:57]                      // 000000004620: D3B14004 18027104
	v_pk_mul_f32 v[6:7], v[6:7], v[58:59]                      // 000000004628: D3B14006 18027506
	v_pk_mul_f32 v[4:5], v[4:5], s[60:61]                      // 000000004630: D3B14004 18007904
	v_pk_mul_f32 v[6:7], v[6:7], s[60:61]                      // 000000004638: D3B14006 18007906
	v_exp_f32_e32 v4, v4                                       // 000000004640: 7E084104
	v_exp_f32_e32 v5, v5                                       // 000000004644: 7E0A4105
	v_exp_f32_e32 v6, v6                                       // 000000004648: 7E0C4106
	v_exp_f32_e32 v7, v7                                       // 00000000464C: 7E0E4107
	v_add_f32_e64 v4, v4, 1.0                                  // 000000004650: D1010004 0001E504
	v_add_f32_e64 v5, v5, 1.0                                  // 000000004658: D1010005 0001E505
	v_add_f32_e64 v6, v6, 1.0                                  // 000000004660: D1010006 0001E506
	v_add_f32_e64 v7, v7, 1.0                                  // 000000004668: D1010007 0001E507
	v_rcp_f32_e32 v4, v4                                       // 000000004670: 7E084504
	v_rcp_f32_e32 v5, v5                                       // 000000004674: 7E0A4505
	v_rcp_f32_e32 v6, v6                                       // 000000004678: 7E0C4506
	v_rcp_f32_e32 v7, v7                                       // 00000000467C: 7E0E4507
	v_mul_f32_e32 v56, v56, v4                                 // 000000004680: 0A700938
	v_mul_f32_e32 v57, v57, v5                                 // 000000004684: 0A720B39
	v_mul_f32_e32 v58, v58, v6                                 // 000000004688: 0A740D3A
	v_mul_f32_e32 v59, v59, v7                                 // 00000000468C: 0A760F3B
	v_mul_f32_e32 v56, v56, v120                               // 000000004690: 0A70F138
	v_mul_f32_e32 v57, v57, v121                               // 000000004694: 0A72F339
	v_mul_f32_e32 v58, v58, v122                               // 000000004698: 0A74F53A
	v_mul_f32_e32 v59, v59, v123                               // 00000000469C: 0A76F73B
	v_pk_mul_f32 v[4:5], v[60:61], v[60:61]                    // 0000000046A0: D3B14004 1802793C
	v_pk_mul_f32 v[6:7], v[62:63], v[62:63]                    // 0000000046A8: D3B14006 18027D3E
	v_pk_fma_f32 v[4:5], v[4:5], s[78:79], v[8:9]              // 0000000046B0: D3B04004 1C209D04
	v_pk_fma_f32 v[6:7], v[6:7], s[78:79], v[8:9]              // 0000000046B8: D3B04006 1C209D06
	v_pk_mul_f32 v[4:5], v[4:5], v[60:61]                      // 0000000046C0: D3B14004 18027904
	v_pk_mul_f32 v[6:7], v[6:7], v[62:63]                      // 0000000046C8: D3B14006 18027D06
	v_pk_mul_f32 v[4:5], v[4:5], s[60:61]                      // 0000000046D0: D3B14004 18007904
	v_pk_mul_f32 v[6:7], v[6:7], s[60:61]                      // 0000000046D8: D3B14006 18007906
	v_exp_f32_e32 v4, v4                                       // 0000000046E0: 7E084104
	v_exp_f32_e32 v5, v5                                       // 0000000046E4: 7E0A4105
	v_exp_f32_e32 v6, v6                                       // 0000000046E8: 7E0C4106
	v_exp_f32_e32 v7, v7                                       // 0000000046EC: 7E0E4107
	v_add_f32_e64 v4, v4, 1.0                                  // 0000000046F0: D1010004 0001E504
	v_add_f32_e64 v5, v5, 1.0                                  // 0000000046F8: D1010005 0001E505
	v_add_f32_e64 v6, v6, 1.0                                  // 000000004700: D1010006 0001E506
	v_add_f32_e64 v7, v7, 1.0                                  // 000000004708: D1010007 0001E507
	v_rcp_f32_e32 v4, v4                                       // 000000004710: 7E084504
	v_rcp_f32_e32 v5, v5                                       // 000000004714: 7E0A4505
	v_rcp_f32_e32 v6, v6                                       // 000000004718: 7E0C4506
	v_rcp_f32_e32 v7, v7                                       // 00000000471C: 7E0E4507
	v_mul_f32_e32 v60, v60, v4                                 // 000000004720: 0A78093C
	v_mul_f32_e32 v61, v61, v5                                 // 000000004724: 0A7A0B3D
	v_mul_f32_e32 v62, v62, v6                                 // 000000004728: 0A7C0D3E
	v_mul_f32_e32 v63, v63, v7                                 // 00000000472C: 0A7E0F3F
	v_mul_f32_e32 v60, v60, v124                               // 000000004730: 0A78F93C
	v_mul_f32_e32 v61, v61, v125                               // 000000004734: 0A7AFB3D
	v_mul_f32_e32 v62, v62, v126                               // 000000004738: 0A7CFD3E
	v_mul_f32_e32 v63, v63, v127                               // 00000000473C: 0A7EFF3F
	v_pk_mul_f32 v[4:5], v[64:65], v[64:65]                    // 000000004740: D3B14004 18028140
	v_pk_mul_f32 v[6:7], v[66:67], v[66:67]                    // 000000004748: D3B14006 18028542
	v_pk_fma_f32 v[4:5], v[4:5], s[78:79], v[8:9]              // 000000004750: D3B04004 1C209D04
	v_pk_fma_f32 v[6:7], v[6:7], s[78:79], v[8:9]              // 000000004758: D3B04006 1C209D06
	v_pk_mul_f32 v[4:5], v[4:5], v[64:65]                      // 000000004760: D3B14004 18028104
	v_pk_mul_f32 v[6:7], v[6:7], v[66:67]                      // 000000004768: D3B14006 18028506
	v_pk_mul_f32 v[4:5], v[4:5], s[60:61]                      // 000000004770: D3B14004 18007904
	v_pk_mul_f32 v[6:7], v[6:7], s[60:61]                      // 000000004778: D3B14006 18007906
	v_exp_f32_e32 v4, v4                                       // 000000004780: 7E084104
	v_exp_f32_e32 v5, v5                                       // 000000004784: 7E0A4105
	v_exp_f32_e32 v6, v6                                       // 000000004788: 7E0C4106
	v_exp_f32_e32 v7, v7                                       // 00000000478C: 7E0E4107
	v_add_f32_e64 v4, v4, 1.0                                  // 000000004790: D1010004 0001E504
	v_add_f32_e64 v5, v5, 1.0                                  // 000000004798: D1010005 0001E505
	v_add_f32_e64 v6, v6, 1.0                                  // 0000000047A0: D1010006 0001E506
	v_add_f32_e64 v7, v7, 1.0                                  // 0000000047A8: D1010007 0001E507
	v_rcp_f32_e32 v4, v4                                       // 0000000047B0: 7E084504
	v_rcp_f32_e32 v5, v5                                       // 0000000047B4: 7E0A4505
	v_rcp_f32_e32 v6, v6                                       // 0000000047B8: 7E0C4506
	v_rcp_f32_e32 v7, v7                                       // 0000000047BC: 7E0E4507
	v_mul_f32_e32 v64, v64, v4                                 // 0000000047C0: 0A800940
	v_mul_f32_e32 v65, v65, v5                                 // 0000000047C4: 0A820B41
	v_mul_f32_e32 v66, v66, v6                                 // 0000000047C8: 0A840D42
	v_mul_f32_e32 v67, v67, v7                                 // 0000000047CC: 0A860F43
	v_mul_f32_e32 v64, v64, v128                               // 0000000047D0: 0A810140
	v_mul_f32_e32 v65, v65, v129                               // 0000000047D4: 0A830341
	v_mul_f32_e32 v66, v66, v130                               // 0000000047D8: 0A850542
	v_mul_f32_e32 v67, v67, v131                               // 0000000047DC: 0A870743
	v_pk_mul_f32 v[4:5], v[68:69], v[68:69]                    // 0000000047E0: D3B14004 18028944
	v_pk_mul_f32 v[6:7], v[70:71], v[70:71]                    // 0000000047E8: D3B14006 18028D46
	v_pk_fma_f32 v[4:5], v[4:5], s[78:79], v[8:9]              // 0000000047F0: D3B04004 1C209D04
	v_pk_fma_f32 v[6:7], v[6:7], s[78:79], v[8:9]              // 0000000047F8: D3B04006 1C209D06
	v_pk_mul_f32 v[4:5], v[4:5], v[68:69]                      // 000000004800: D3B14004 18028904
	v_pk_mul_f32 v[6:7], v[6:7], v[70:71]                      // 000000004808: D3B14006 18028D06
	v_pk_mul_f32 v[4:5], v[4:5], s[60:61]                      // 000000004810: D3B14004 18007904
	v_pk_mul_f32 v[6:7], v[6:7], s[60:61]                      // 000000004818: D3B14006 18007906
	v_exp_f32_e32 v4, v4                                       // 000000004820: 7E084104
	v_exp_f32_e32 v5, v5                                       // 000000004824: 7E0A4105
	v_exp_f32_e32 v6, v6                                       // 000000004828: 7E0C4106
	v_exp_f32_e32 v7, v7                                       // 00000000482C: 7E0E4107
	v_add_f32_e64 v4, v4, 1.0                                  // 000000004830: D1010004 0001E504
	v_add_f32_e64 v5, v5, 1.0                                  // 000000004838: D1010005 0001E505
	v_add_f32_e64 v6, v6, 1.0                                  // 000000004840: D1010006 0001E506
	v_add_f32_e64 v7, v7, 1.0                                  // 000000004848: D1010007 0001E507
	v_rcp_f32_e32 v4, v4                                       // 000000004850: 7E084504
	v_rcp_f32_e32 v5, v5                                       // 000000004854: 7E0A4505
	v_rcp_f32_e32 v6, v6                                       // 000000004858: 7E0C4506
	v_rcp_f32_e32 v7, v7                                       // 00000000485C: 7E0E4507
	v_mul_f32_e32 v68, v68, v4                                 // 000000004860: 0A880944
	v_mul_f32_e32 v69, v69, v5                                 // 000000004864: 0A8A0B45
	v_mul_f32_e32 v70, v70, v6                                 // 000000004868: 0A8C0D46
	v_mul_f32_e32 v71, v71, v7                                 // 00000000486C: 0A8E0F47
	v_mul_f32_e32 v68, v68, v132                               // 000000004870: 0A890944
	v_mul_f32_e32 v69, v69, v133                               // 000000004874: 0A8B0B45
	v_mul_f32_e32 v70, v70, v134                               // 000000004878: 0A8D0D46
	v_mul_f32_e32 v71, v71, v135                               // 00000000487C: 0A8F0F47
	v_pk_mul_f32 v[4:5], v[72:73], v[72:73]                    // 000000004880: D3B14004 18029148
	v_pk_mul_f32 v[6:7], v[74:75], v[74:75]                    // 000000004888: D3B14006 1802954A
	v_pk_fma_f32 v[4:5], v[4:5], s[78:79], v[8:9]              // 000000004890: D3B04004 1C209D04
	v_pk_fma_f32 v[6:7], v[6:7], s[78:79], v[8:9]              // 000000004898: D3B04006 1C209D06
	v_pk_mul_f32 v[4:5], v[4:5], v[72:73]                      // 0000000048A0: D3B14004 18029104
	v_pk_mul_f32 v[6:7], v[6:7], v[74:75]                      // 0000000048A8: D3B14006 18029506
	v_pk_mul_f32 v[4:5], v[4:5], s[60:61]                      // 0000000048B0: D3B14004 18007904
	v_pk_mul_f32 v[6:7], v[6:7], s[60:61]                      // 0000000048B8: D3B14006 18007906
	v_exp_f32_e32 v4, v4                                       // 0000000048C0: 7E084104
	v_exp_f32_e32 v5, v5                                       // 0000000048C4: 7E0A4105
	v_exp_f32_e32 v6, v6                                       // 0000000048C8: 7E0C4106
	v_exp_f32_e32 v7, v7                                       // 0000000048CC: 7E0E4107
	v_add_f32_e64 v4, v4, 1.0                                  // 0000000048D0: D1010004 0001E504
	v_add_f32_e64 v5, v5, 1.0                                  // 0000000048D8: D1010005 0001E505
	v_add_f32_e64 v6, v6, 1.0                                  // 0000000048E0: D1010006 0001E506
	v_add_f32_e64 v7, v7, 1.0                                  // 0000000048E8: D1010007 0001E507
	v_rcp_f32_e32 v4, v4                                       // 0000000048F0: 7E084504
	v_rcp_f32_e32 v5, v5                                       // 0000000048F4: 7E0A4505
	v_rcp_f32_e32 v6, v6                                       // 0000000048F8: 7E0C4506
	v_rcp_f32_e32 v7, v7                                       // 0000000048FC: 7E0E4507
	v_mul_f32_e32 v72, v72, v4                                 // 000000004900: 0A900948
	v_mul_f32_e32 v73, v73, v5                                 // 000000004904: 0A920B49
	v_mul_f32_e32 v74, v74, v6                                 // 000000004908: 0A940D4A
	v_mul_f32_e32 v75, v75, v7                                 // 00000000490C: 0A960F4B
	v_mul_f32_e32 v72, v72, v136                               // 000000004910: 0A911148
	v_mul_f32_e32 v73, v73, v137                               // 000000004914: 0A931349
	v_mul_f32_e32 v74, v74, v138                               // 000000004918: 0A95154A
	v_mul_f32_e32 v75, v75, v139                               // 00000000491C: 0A97174B
	v_pk_mul_f32 v[4:5], v[76:77], v[76:77]                    // 000000004920: D3B14004 1802994C
	v_pk_mul_f32 v[6:7], v[78:79], v[78:79]                    // 000000004928: D3B14006 18029D4E
	v_pk_fma_f32 v[4:5], v[4:5], s[78:79], v[8:9]              // 000000004930: D3B04004 1C209D04
	v_pk_fma_f32 v[6:7], v[6:7], s[78:79], v[8:9]              // 000000004938: D3B04006 1C209D06
	v_pk_mul_f32 v[4:5], v[4:5], v[76:77]                      // 000000004940: D3B14004 18029904
	v_pk_mul_f32 v[6:7], v[6:7], v[78:79]                      // 000000004948: D3B14006 18029D06
	v_pk_mul_f32 v[4:5], v[4:5], s[60:61]                      // 000000004950: D3B14004 18007904
	v_pk_mul_f32 v[6:7], v[6:7], s[60:61]                      // 000000004958: D3B14006 18007906
	v_exp_f32_e32 v4, v4                                       // 000000004960: 7E084104
	v_exp_f32_e32 v5, v5                                       // 000000004964: 7E0A4105
	v_exp_f32_e32 v6, v6                                       // 000000004968: 7E0C4106
	v_exp_f32_e32 v7, v7                                       // 00000000496C: 7E0E4107
	v_add_f32_e64 v4, v4, 1.0                                  // 000000004970: D1010004 0001E504
	v_add_f32_e64 v5, v5, 1.0                                  // 000000004978: D1010005 0001E505
	v_add_f32_e64 v6, v6, 1.0                                  // 000000004980: D1010006 0001E506
	v_add_f32_e64 v7, v7, 1.0                                  // 000000004988: D1010007 0001E507
	v_rcp_f32_e32 v4, v4                                       // 000000004990: 7E084504
	v_rcp_f32_e32 v5, v5                                       // 000000004994: 7E0A4505
	v_rcp_f32_e32 v6, v6                                       // 000000004998: 7E0C4506
	v_rcp_f32_e32 v7, v7                                       // 00000000499C: 7E0E4507
	v_mul_f32_e32 v76, v76, v4                                 // 0000000049A0: 0A98094C
	v_mul_f32_e32 v77, v77, v5                                 // 0000000049A4: 0A9A0B4D
	v_mul_f32_e32 v78, v78, v6                                 // 0000000049A8: 0A9C0D4E
	v_mul_f32_e32 v79, v79, v7                                 // 0000000049AC: 0A9E0F4F
	v_mul_f32_e32 v76, v76, v140                               // 0000000049B0: 0A99194C
	v_mul_f32_e32 v77, v77, v141                               // 0000000049B4: 0A9B1B4D
	v_mul_f32_e32 v78, v78, v142                               // 0000000049B8: 0A9D1D4E
	v_mul_f32_e32 v79, v79, v143                               // 0000000049BC: 0A9F1F4F
	v_pk_mul_f32 v[4:5], v[80:81], v[80:81]                    // 0000000049C0: D3B14004 1802A150
	v_pk_mul_f32 v[6:7], v[82:83], v[82:83]                    // 0000000049C8: D3B14006 1802A552
	v_pk_fma_f32 v[4:5], v[4:5], s[78:79], v[8:9]              // 0000000049D0: D3B04004 1C209D04
	v_pk_fma_f32 v[6:7], v[6:7], s[78:79], v[8:9]              // 0000000049D8: D3B04006 1C209D06
	v_pk_mul_f32 v[4:5], v[4:5], v[80:81]                      // 0000000049E0: D3B14004 1802A104
	v_pk_mul_f32 v[6:7], v[6:7], v[82:83]                      // 0000000049E8: D3B14006 1802A506
	v_pk_mul_f32 v[4:5], v[4:5], s[60:61]                      // 0000000049F0: D3B14004 18007904
	v_pk_mul_f32 v[6:7], v[6:7], s[60:61]                      // 0000000049F8: D3B14006 18007906
	v_exp_f32_e32 v4, v4                                       // 000000004A00: 7E084104
	v_exp_f32_e32 v5, v5                                       // 000000004A04: 7E0A4105
	v_exp_f32_e32 v6, v6                                       // 000000004A08: 7E0C4106
	v_exp_f32_e32 v7, v7                                       // 000000004A0C: 7E0E4107
	v_add_f32_e64 v4, v4, 1.0                                  // 000000004A10: D1010004 0001E504
	v_add_f32_e64 v5, v5, 1.0                                  // 000000004A18: D1010005 0001E505
	v_add_f32_e64 v6, v6, 1.0                                  // 000000004A20: D1010006 0001E506
	v_add_f32_e64 v7, v7, 1.0                                  // 000000004A28: D1010007 0001E507
	v_rcp_f32_e32 v4, v4                                       // 000000004A30: 7E084504
	v_rcp_f32_e32 v5, v5                                       // 000000004A34: 7E0A4505
	v_rcp_f32_e32 v6, v6                                       // 000000004A38: 7E0C4506
	v_rcp_f32_e32 v7, v7                                       // 000000004A3C: 7E0E4507
	v_mul_f32_e32 v80, v80, v4                                 // 000000004A40: 0AA00950
	v_mul_f32_e32 v81, v81, v5                                 // 000000004A44: 0AA20B51
	v_mul_f32_e32 v82, v82, v6                                 // 000000004A48: 0AA40D52
	v_mul_f32_e32 v83, v83, v7                                 // 000000004A4C: 0AA60F53
	v_mul_f32_e32 v80, v80, v144                               // 000000004A50: 0AA12150
	v_mul_f32_e32 v81, v81, v145                               // 000000004A54: 0AA32351
	v_mul_f32_e32 v82, v82, v146                               // 000000004A58: 0AA52552
	v_mul_f32_e32 v83, v83, v147                               // 000000004A5C: 0AA72753
	v_pk_mul_f32 v[4:5], v[84:85], v[84:85]                    // 000000004A60: D3B14004 1802A954
	v_pk_mul_f32 v[6:7], v[86:87], v[86:87]                    // 000000004A68: D3B14006 1802AD56
	v_pk_fma_f32 v[4:5], v[4:5], s[78:79], v[8:9]              // 000000004A70: D3B04004 1C209D04
	v_pk_fma_f32 v[6:7], v[6:7], s[78:79], v[8:9]              // 000000004A78: D3B04006 1C209D06
	v_pk_mul_f32 v[4:5], v[4:5], v[84:85]                      // 000000004A80: D3B14004 1802A904
	v_pk_mul_f32 v[6:7], v[6:7], v[86:87]                      // 000000004A88: D3B14006 1802AD06
	v_pk_mul_f32 v[4:5], v[4:5], s[60:61]                      // 000000004A90: D3B14004 18007904
	v_pk_mul_f32 v[6:7], v[6:7], s[60:61]                      // 000000004A98: D3B14006 18007906
	v_exp_f32_e32 v4, v4                                       // 000000004AA0: 7E084104
	v_exp_f32_e32 v5, v5                                       // 000000004AA4: 7E0A4105
	v_exp_f32_e32 v6, v6                                       // 000000004AA8: 7E0C4106
	v_exp_f32_e32 v7, v7                                       // 000000004AAC: 7E0E4107
	v_add_f32_e64 v4, v4, 1.0                                  // 000000004AB0: D1010004 0001E504
	v_add_f32_e64 v5, v5, 1.0                                  // 000000004AB8: D1010005 0001E505
	v_add_f32_e64 v6, v6, 1.0                                  // 000000004AC0: D1010006 0001E506
	v_add_f32_e64 v7, v7, 1.0                                  // 000000004AC8: D1010007 0001E507
	v_rcp_f32_e32 v4, v4                                       // 000000004AD0: 7E084504
	v_rcp_f32_e32 v5, v5                                       // 000000004AD4: 7E0A4505
	v_rcp_f32_e32 v6, v6                                       // 000000004AD8: 7E0C4506
	v_rcp_f32_e32 v7, v7                                       // 000000004ADC: 7E0E4507
	v_mul_f32_e32 v84, v84, v4                                 // 000000004AE0: 0AA80954
	v_mul_f32_e32 v85, v85, v5                                 // 000000004AE4: 0AAA0B55
	v_mul_f32_e32 v86, v86, v6                                 // 000000004AE8: 0AAC0D56
	v_mul_f32_e32 v87, v87, v7                                 // 000000004AEC: 0AAE0F57
	v_mul_f32_e32 v84, v84, v148                               // 000000004AF0: 0AA92954
	v_mul_f32_e32 v85, v85, v149                               // 000000004AF4: 0AAB2B55
	v_mul_f32_e32 v86, v86, v150                               // 000000004AF8: 0AAD2D56
	v_mul_f32_e32 v87, v87, v151                               // 000000004AFC: 0AAF2F57
	v_pk_mul_f32 v[4:5], v[88:89], v[88:89]                    // 000000004B00: D3B14004 1802B158
	v_pk_mul_f32 v[6:7], v[90:91], v[90:91]                    // 000000004B08: D3B14006 1802B55A
	v_pk_fma_f32 v[4:5], v[4:5], s[78:79], v[8:9]              // 000000004B10: D3B04004 1C209D04
	v_pk_fma_f32 v[6:7], v[6:7], s[78:79], v[8:9]              // 000000004B18: D3B04006 1C209D06
	v_pk_mul_f32 v[4:5], v[4:5], v[88:89]                      // 000000004B20: D3B14004 1802B104
	v_pk_mul_f32 v[6:7], v[6:7], v[90:91]                      // 000000004B28: D3B14006 1802B506
	v_pk_mul_f32 v[4:5], v[4:5], s[60:61]                      // 000000004B30: D3B14004 18007904
	v_pk_mul_f32 v[6:7], v[6:7], s[60:61]                      // 000000004B38: D3B14006 18007906
	v_exp_f32_e32 v4, v4                                       // 000000004B40: 7E084104
	v_exp_f32_e32 v5, v5                                       // 000000004B44: 7E0A4105
	v_exp_f32_e32 v6, v6                                       // 000000004B48: 7E0C4106
	v_exp_f32_e32 v7, v7                                       // 000000004B4C: 7E0E4107
	v_add_f32_e64 v4, v4, 1.0                                  // 000000004B50: D1010004 0001E504
	v_add_f32_e64 v5, v5, 1.0                                  // 000000004B58: D1010005 0001E505
	v_add_f32_e64 v6, v6, 1.0                                  // 000000004B60: D1010006 0001E506
	v_add_f32_e64 v7, v7, 1.0                                  // 000000004B68: D1010007 0001E507
	v_rcp_f32_e32 v4, v4                                       // 000000004B70: 7E084504
	v_rcp_f32_e32 v5, v5                                       // 000000004B74: 7E0A4505
	v_rcp_f32_e32 v6, v6                                       // 000000004B78: 7E0C4506
	v_rcp_f32_e32 v7, v7                                       // 000000004B7C: 7E0E4507
	v_mul_f32_e32 v88, v88, v4                                 // 000000004B80: 0AB00958
	v_mul_f32_e32 v89, v89, v5                                 // 000000004B84: 0AB20B59
	v_mul_f32_e32 v90, v90, v6                                 // 000000004B88: 0AB40D5A
	v_mul_f32_e32 v91, v91, v7                                 // 000000004B8C: 0AB60F5B
	v_mul_f32_e32 v88, v88, v152                               // 000000004B90: 0AB13158
	v_mul_f32_e32 v89, v89, v153                               // 000000004B94: 0AB33359
	v_mul_f32_e32 v90, v90, v154                               // 000000004B98: 0AB5355A
	v_mul_f32_e32 v91, v91, v155                               // 000000004B9C: 0AB7375B
	v_pk_mul_f32 v[4:5], v[92:93], v[92:93]                    // 000000004BA0: D3B14004 1802B95C
	v_pk_mul_f32 v[6:7], v[94:95], v[94:95]                    // 000000004BA8: D3B14006 1802BD5E
	v_pk_fma_f32 v[4:5], v[4:5], s[78:79], v[8:9]              // 000000004BB0: D3B04004 1C209D04
	v_pk_fma_f32 v[6:7], v[6:7], s[78:79], v[8:9]              // 000000004BB8: D3B04006 1C209D06
	v_pk_mul_f32 v[4:5], v[4:5], v[92:93]                      // 000000004BC0: D3B14004 1802B904
	v_pk_mul_f32 v[6:7], v[6:7], v[94:95]                      // 000000004BC8: D3B14006 1802BD06
	v_pk_mul_f32 v[4:5], v[4:5], s[60:61]                      // 000000004BD0: D3B14004 18007904
	v_pk_mul_f32 v[6:7], v[6:7], s[60:61]                      // 000000004BD8: D3B14006 18007906
	v_exp_f32_e32 v4, v4                                       // 000000004BE0: 7E084104
	v_exp_f32_e32 v5, v5                                       // 000000004BE4: 7E0A4105
	v_exp_f32_e32 v6, v6                                       // 000000004BE8: 7E0C4106
	v_exp_f32_e32 v7, v7                                       // 000000004BEC: 7E0E4107
	v_add_f32_e64 v4, v4, 1.0                                  // 000000004BF0: D1010004 0001E504
	v_add_f32_e64 v5, v5, 1.0                                  // 000000004BF8: D1010005 0001E505
	v_add_f32_e64 v6, v6, 1.0                                  // 000000004C00: D1010006 0001E506
	v_add_f32_e64 v7, v7, 1.0                                  // 000000004C08: D1010007 0001E507
	v_rcp_f32_e32 v4, v4                                       // 000000004C10: 7E084504
	v_rcp_f32_e32 v5, v5                                       // 000000004C14: 7E0A4505
	v_rcp_f32_e32 v6, v6                                       // 000000004C18: 7E0C4506
	v_rcp_f32_e32 v7, v7                                       // 000000004C1C: 7E0E4507
	v_mul_f32_e32 v92, v92, v4                                 // 000000004C20: 0AB8095C
	v_mul_f32_e32 v93, v93, v5                                 // 000000004C24: 0ABA0B5D
	v_mul_f32_e32 v94, v94, v6                                 // 000000004C28: 0ABC0D5E
	v_mul_f32_e32 v95, v95, v7                                 // 000000004C2C: 0ABE0F5F
	v_mul_f32_e32 v92, v92, v156                               // 000000004C30: 0AB9395C
	v_mul_f32_e32 v93, v93, v157                               // 000000004C34: 0ABB3B5D
	v_mul_f32_e32 v94, v94, v158                               // 000000004C38: 0ABD3D5E
	v_mul_f32_e32 v95, v95, v159                               // 000000004C3C: 0ABF3F5F
	v_pk_mul_f32 v[4:5], v[96:97], v[96:97]                    // 000000004C40: D3B14004 1802C160
	v_pk_mul_f32 v[6:7], v[98:99], v[98:99]                    // 000000004C48: D3B14006 1802C562
	v_pk_fma_f32 v[4:5], v[4:5], s[78:79], v[8:9]              // 000000004C50: D3B04004 1C209D04
	v_pk_fma_f32 v[6:7], v[6:7], s[78:79], v[8:9]              // 000000004C58: D3B04006 1C209D06
	v_pk_mul_f32 v[4:5], v[4:5], v[96:97]                      // 000000004C60: D3B14004 1802C104
	v_pk_mul_f32 v[6:7], v[6:7], v[98:99]                      // 000000004C68: D3B14006 1802C506
	v_pk_mul_f32 v[4:5], v[4:5], s[60:61]                      // 000000004C70: D3B14004 18007904
	v_pk_mul_f32 v[6:7], v[6:7], s[60:61]                      // 000000004C78: D3B14006 18007906
	v_exp_f32_e32 v4, v4                                       // 000000004C80: 7E084104
	v_exp_f32_e32 v5, v5                                       // 000000004C84: 7E0A4105
	v_exp_f32_e32 v6, v6                                       // 000000004C88: 7E0C4106
	v_exp_f32_e32 v7, v7                                       // 000000004C8C: 7E0E4107
	v_add_f32_e64 v4, v4, 1.0                                  // 000000004C90: D1010004 0001E504
	v_add_f32_e64 v5, v5, 1.0                                  // 000000004C98: D1010005 0001E505
	v_add_f32_e64 v6, v6, 1.0                                  // 000000004CA0: D1010006 0001E506
	v_add_f32_e64 v7, v7, 1.0                                  // 000000004CA8: D1010007 0001E507
	v_rcp_f32_e32 v4, v4                                       // 000000004CB0: 7E084504
	v_rcp_f32_e32 v5, v5                                       // 000000004CB4: 7E0A4505
	v_rcp_f32_e32 v6, v6                                       // 000000004CB8: 7E0C4506
	v_rcp_f32_e32 v7, v7                                       // 000000004CBC: 7E0E4507
	v_mul_f32_e32 v96, v96, v4                                 // 000000004CC0: 0AC00960
	v_mul_f32_e32 v97, v97, v5                                 // 000000004CC4: 0AC20B61
	v_mul_f32_e32 v98, v98, v6                                 // 000000004CC8: 0AC40D62
	v_mul_f32_e32 v99, v99, v7                                 // 000000004CCC: 0AC60F63
	v_mul_f32_e32 v96, v96, v160                               // 000000004CD0: 0AC14160
	v_mul_f32_e32 v97, v97, v161                               // 000000004CD4: 0AC34361
	v_mul_f32_e32 v98, v98, v162                               // 000000004CD8: 0AC54562
	v_mul_f32_e32 v99, v99, v163                               // 000000004CDC: 0AC74763
	v_pk_mul_f32 v[4:5], v[100:101], v[100:101]                // 000000004CE0: D3B14004 1802C964
	v_pk_mul_f32 v[6:7], v[102:103], v[102:103]                // 000000004CE8: D3B14006 1802CD66
	v_pk_fma_f32 v[4:5], v[4:5], s[78:79], v[8:9]              // 000000004CF0: D3B04004 1C209D04
	v_pk_fma_f32 v[6:7], v[6:7], s[78:79], v[8:9]              // 000000004CF8: D3B04006 1C209D06
	v_pk_mul_f32 v[4:5], v[4:5], v[100:101]                    // 000000004D00: D3B14004 1802C904
	v_pk_mul_f32 v[6:7], v[6:7], v[102:103]                    // 000000004D08: D3B14006 1802CD06
	v_pk_mul_f32 v[4:5], v[4:5], s[60:61]                      // 000000004D10: D3B14004 18007904
	v_pk_mul_f32 v[6:7], v[6:7], s[60:61]                      // 000000004D18: D3B14006 18007906
	v_exp_f32_e32 v4, v4                                       // 000000004D20: 7E084104
	v_exp_f32_e32 v5, v5                                       // 000000004D24: 7E0A4105
	v_exp_f32_e32 v6, v6                                       // 000000004D28: 7E0C4106
	v_exp_f32_e32 v7, v7                                       // 000000004D2C: 7E0E4107
	v_add_f32_e64 v4, v4, 1.0                                  // 000000004D30: D1010004 0001E504
	v_add_f32_e64 v5, v5, 1.0                                  // 000000004D38: D1010005 0001E505
	v_add_f32_e64 v6, v6, 1.0                                  // 000000004D40: D1010006 0001E506
	v_add_f32_e64 v7, v7, 1.0                                  // 000000004D48: D1010007 0001E507
	v_rcp_f32_e32 v4, v4                                       // 000000004D50: 7E084504
	v_rcp_f32_e32 v5, v5                                       // 000000004D54: 7E0A4505
	v_rcp_f32_e32 v6, v6                                       // 000000004D58: 7E0C4506
	v_rcp_f32_e32 v7, v7                                       // 000000004D5C: 7E0E4507
	v_mul_f32_e32 v100, v100, v4                               // 000000004D60: 0AC80964
	v_mul_f32_e32 v101, v101, v5                               // 000000004D64: 0ACA0B65
	v_mul_f32_e32 v102, v102, v6                               // 000000004D68: 0ACC0D66
	v_mul_f32_e32 v103, v103, v7                               // 000000004D6C: 0ACE0F67
	v_mul_f32_e32 v100, v100, v164                             // 000000004D70: 0AC94964
	v_mul_f32_e32 v101, v101, v165                             // 000000004D74: 0ACB4B65
	v_mul_f32_e32 v102, v102, v166                             // 000000004D78: 0ACD4D66
	v_mul_f32_e32 v103, v103, v167                             // 000000004D7C: 0ACF4F67
	v_pk_mul_f32 v[4:5], v[104:105], v[104:105]                // 000000004D80: D3B14004 1802D168
	v_pk_mul_f32 v[6:7], v[106:107], v[106:107]                // 000000004D88: D3B14006 1802D56A
	v_pk_fma_f32 v[4:5], v[4:5], s[78:79], v[8:9]              // 000000004D90: D3B04004 1C209D04
	v_pk_fma_f32 v[6:7], v[6:7], s[78:79], v[8:9]              // 000000004D98: D3B04006 1C209D06
	v_pk_mul_f32 v[4:5], v[4:5], v[104:105]                    // 000000004DA0: D3B14004 1802D104
	v_pk_mul_f32 v[6:7], v[6:7], v[106:107]                    // 000000004DA8: D3B14006 1802D506
	v_pk_mul_f32 v[4:5], v[4:5], s[60:61]                      // 000000004DB0: D3B14004 18007904
	v_pk_mul_f32 v[6:7], v[6:7], s[60:61]                      // 000000004DB8: D3B14006 18007906
	v_exp_f32_e32 v4, v4                                       // 000000004DC0: 7E084104
	v_exp_f32_e32 v5, v5                                       // 000000004DC4: 7E0A4105
	v_exp_f32_e32 v6, v6                                       // 000000004DC8: 7E0C4106
	v_exp_f32_e32 v7, v7                                       // 000000004DCC: 7E0E4107
	v_add_f32_e64 v4, v4, 1.0                                  // 000000004DD0: D1010004 0001E504
	v_add_f32_e64 v5, v5, 1.0                                  // 000000004DD8: D1010005 0001E505
	v_add_f32_e64 v6, v6, 1.0                                  // 000000004DE0: D1010006 0001E506
	v_add_f32_e64 v7, v7, 1.0                                  // 000000004DE8: D1010007 0001E507
	v_rcp_f32_e32 v4, v4                                       // 000000004DF0: 7E084504
	v_rcp_f32_e32 v5, v5                                       // 000000004DF4: 7E0A4505
	v_rcp_f32_e32 v6, v6                                       // 000000004DF8: 7E0C4506
	v_rcp_f32_e32 v7, v7                                       // 000000004DFC: 7E0E4507
	v_mul_f32_e32 v104, v104, v4                               // 000000004E00: 0AD00968
	v_mul_f32_e32 v105, v105, v5                               // 000000004E04: 0AD20B69
	v_mul_f32_e32 v106, v106, v6                               // 000000004E08: 0AD40D6A
	v_mul_f32_e32 v107, v107, v7                               // 000000004E0C: 0AD60F6B
	v_mul_f32_e32 v104, v104, v168                             // 000000004E10: 0AD15168
	v_mul_f32_e32 v105, v105, v169                             // 000000004E14: 0AD35369
	v_mul_f32_e32 v106, v106, v170                             // 000000004E18: 0AD5556A
	v_mul_f32_e32 v107, v107, v171                             // 000000004E1C: 0AD7576B
	v_pk_mul_f32 v[4:5], v[108:109], v[108:109]                // 000000004E20: D3B14004 1802D96C
	v_pk_mul_f32 v[6:7], v[110:111], v[110:111]                // 000000004E28: D3B14006 1802DD6E
	v_pk_fma_f32 v[4:5], v[4:5], s[78:79], v[8:9]              // 000000004E30: D3B04004 1C209D04
	v_pk_fma_f32 v[6:7], v[6:7], s[78:79], v[8:9]              // 000000004E38: D3B04006 1C209D06
	v_pk_mul_f32 v[4:5], v[4:5], v[108:109]                    // 000000004E40: D3B14004 1802D904
	v_pk_mul_f32 v[6:7], v[6:7], v[110:111]                    // 000000004E48: D3B14006 1802DD06
	v_pk_mul_f32 v[4:5], v[4:5], s[60:61]                      // 000000004E50: D3B14004 18007904
	v_pk_mul_f32 v[6:7], v[6:7], s[60:61]                      // 000000004E58: D3B14006 18007906
	v_exp_f32_e32 v4, v4                                       // 000000004E60: 7E084104
	v_exp_f32_e32 v5, v5                                       // 000000004E64: 7E0A4105
	v_exp_f32_e32 v6, v6                                       // 000000004E68: 7E0C4106
	v_exp_f32_e32 v7, v7                                       // 000000004E6C: 7E0E4107
	v_add_f32_e64 v4, v4, 1.0                                  // 000000004E70: D1010004 0001E504
	v_add_f32_e64 v5, v5, 1.0                                  // 000000004E78: D1010005 0001E505
	v_add_f32_e64 v6, v6, 1.0                                  // 000000004E80: D1010006 0001E506
	v_add_f32_e64 v7, v7, 1.0                                  // 000000004E88: D1010007 0001E507
	v_rcp_f32_e32 v4, v4                                       // 000000004E90: 7E084504
	v_rcp_f32_e32 v5, v5                                       // 000000004E94: 7E0A4505
	v_rcp_f32_e32 v6, v6                                       // 000000004E98: 7E0C4506
	v_rcp_f32_e32 v7, v7                                       // 000000004E9C: 7E0E4507
	v_mul_f32_e32 v108, v108, v4                               // 000000004EA0: 0AD8096C
	v_mul_f32_e32 v109, v109, v5                               // 000000004EA4: 0ADA0B6D
	v_mul_f32_e32 v110, v110, v6                               // 000000004EA8: 0ADC0D6E
	v_mul_f32_e32 v111, v111, v7                               // 000000004EAC: 0ADE0F6F
	v_mul_f32_e32 v108, v108, v172                             // 000000004EB0: 0AD9596C
	v_mul_f32_e32 v109, v109, v173                             // 000000004EB4: 0ADB5B6D
	v_mul_f32_e32 v110, v110, v174                             // 000000004EB8: 0ADD5D6E
	v_mul_f32_e32 v111, v111, v175                             // 000000004EBC: 0ADF5F6F
	v_pk_mul_f32 v[4:5], v[112:113], v[112:113]                // 000000004EC0: D3B14004 1802E170
	v_pk_mul_f32 v[6:7], v[114:115], v[114:115]                // 000000004EC8: D3B14006 1802E572
	v_pk_fma_f32 v[4:5], v[4:5], s[78:79], v[8:9]              // 000000004ED0: D3B04004 1C209D04
	v_pk_fma_f32 v[6:7], v[6:7], s[78:79], v[8:9]              // 000000004ED8: D3B04006 1C209D06
	v_pk_mul_f32 v[4:5], v[4:5], v[112:113]                    // 000000004EE0: D3B14004 1802E104
	v_pk_mul_f32 v[6:7], v[6:7], v[114:115]                    // 000000004EE8: D3B14006 1802E506
	v_pk_mul_f32 v[4:5], v[4:5], s[60:61]                      // 000000004EF0: D3B14004 18007904
	v_pk_mul_f32 v[6:7], v[6:7], s[60:61]                      // 000000004EF8: D3B14006 18007906
	v_exp_f32_e32 v4, v4                                       // 000000004F00: 7E084104
	v_exp_f32_e32 v5, v5                                       // 000000004F04: 7E0A4105
	v_exp_f32_e32 v6, v6                                       // 000000004F08: 7E0C4106
	v_exp_f32_e32 v7, v7                                       // 000000004F0C: 7E0E4107
	v_add_f32_e64 v4, v4, 1.0                                  // 000000004F10: D1010004 0001E504
	v_add_f32_e64 v5, v5, 1.0                                  // 000000004F18: D1010005 0001E505
	v_add_f32_e64 v6, v6, 1.0                                  // 000000004F20: D1010006 0001E506
	v_add_f32_e64 v7, v7, 1.0                                  // 000000004F28: D1010007 0001E507
	v_rcp_f32_e32 v4, v4                                       // 000000004F30: 7E084504
	v_rcp_f32_e32 v5, v5                                       // 000000004F34: 7E0A4505
	v_rcp_f32_e32 v6, v6                                       // 000000004F38: 7E0C4506
	v_rcp_f32_e32 v7, v7                                       // 000000004F3C: 7E0E4507
	v_mul_f32_e32 v112, v112, v4                               // 000000004F40: 0AE00970
	v_mul_f32_e32 v113, v113, v5                               // 000000004F44: 0AE20B71
	v_mul_f32_e32 v114, v114, v6                               // 000000004F48: 0AE40D72
	v_mul_f32_e32 v115, v115, v7                               // 000000004F4C: 0AE60F73
	v_mul_f32_e32 v112, v112, v176                             // 000000004F50: 0AE16170
	v_mul_f32_e32 v113, v113, v177                             // 000000004F54: 0AE36371
	v_mul_f32_e32 v114, v114, v178                             // 000000004F58: 0AE56572
	v_mul_f32_e32 v115, v115, v179                             // 000000004F5C: 0AE76773
	s_branch label_0B59                                        // 000000004F60: BF820200

0000000000004f64 <label_0959>:
	v_mul_f32_e64 v4, -v52, s6                                 // 000000004F64: D1050004 20000D34
	v_mul_f32_e64 v5, -v53, s6                                 // 000000004F6C: D1050005 20000D35
	v_mul_f32_e64 v6, -v54, s6                                 // 000000004F74: D1050006 20000D36
	v_mul_f32_e64 v7, -v55, s6                                 // 000000004F7C: D1050007 20000D37
	v_exp_f32_e32 v4, v4                                       // 000000004F84: 7E084104
	v_exp_f32_e32 v5, v5                                       // 000000004F88: 7E0A4105
	v_exp_f32_e32 v6, v6                                       // 000000004F8C: 7E0C4106
	v_exp_f32_e32 v7, v7                                       // 000000004F90: 7E0E4107
	v_add_f32_e64 v4, v4, 1.0                                  // 000000004F94: D1010004 0001E504
	v_add_f32_e64 v5, v5, 1.0                                  // 000000004F9C: D1010005 0001E505
	v_add_f32_e64 v6, v6, 1.0                                  // 000000004FA4: D1010006 0001E506
	v_add_f32_e64 v7, v7, 1.0                                  // 000000004FAC: D1010007 0001E507
	v_rcp_f32_e32 v4, v4                                       // 000000004FB4: 7E084504
	v_rcp_f32_e32 v5, v5                                       // 000000004FB8: 7E0A4505
	v_rcp_f32_e32 v6, v6                                       // 000000004FBC: 7E0C4506
	v_rcp_f32_e32 v7, v7                                       // 000000004FC0: 7E0E4507
	v_mul_f32_e32 v52, v52, v4                                 // 000000004FC4: 0A680934
	v_mul_f32_e32 v53, v53, v5                                 // 000000004FC8: 0A6A0B35
	v_mul_f32_e32 v54, v54, v6                                 // 000000004FCC: 0A6C0D36
	v_mul_f32_e32 v55, v55, v7                                 // 000000004FD0: 0A6E0F37
	v_mul_f32_e32 v52, v52, v116                               // 000000004FD4: 0A68E934
	v_mul_f32_e32 v53, v53, v117                               // 000000004FD8: 0A6AEB35
	v_mul_f32_e32 v54, v54, v118                               // 000000004FDC: 0A6CED36
	v_mul_f32_e32 v55, v55, v119                               // 000000004FE0: 0A6EEF37
	v_mul_f32_e64 v4, -v56, s6                                 // 000000004FE4: D1050004 20000D38
	v_mul_f32_e64 v5, -v57, s6                                 // 000000004FEC: D1050005 20000D39
	v_mul_f32_e64 v6, -v58, s6                                 // 000000004FF4: D1050006 20000D3A
	v_mul_f32_e64 v7, -v59, s6                                 // 000000004FFC: D1050007 20000D3B
	v_exp_f32_e32 v4, v4                                       // 000000005004: 7E084104
	v_exp_f32_e32 v5, v5                                       // 000000005008: 7E0A4105
	v_exp_f32_e32 v6, v6                                       // 00000000500C: 7E0C4106
	v_exp_f32_e32 v7, v7                                       // 000000005010: 7E0E4107
	v_add_f32_e64 v4, v4, 1.0                                  // 000000005014: D1010004 0001E504
	v_add_f32_e64 v5, v5, 1.0                                  // 00000000501C: D1010005 0001E505
	v_add_f32_e64 v6, v6, 1.0                                  // 000000005024: D1010006 0001E506
	v_add_f32_e64 v7, v7, 1.0                                  // 00000000502C: D1010007 0001E507
	v_rcp_f32_e32 v4, v4                                       // 000000005034: 7E084504
	v_rcp_f32_e32 v5, v5                                       // 000000005038: 7E0A4505
	v_rcp_f32_e32 v6, v6                                       // 00000000503C: 7E0C4506
	v_rcp_f32_e32 v7, v7                                       // 000000005040: 7E0E4507
	v_mul_f32_e32 v56, v56, v4                                 // 000000005044: 0A700938
	v_mul_f32_e32 v57, v57, v5                                 // 000000005048: 0A720B39
	v_mul_f32_e32 v58, v58, v6                                 // 00000000504C: 0A740D3A
	v_mul_f32_e32 v59, v59, v7                                 // 000000005050: 0A760F3B
	v_mul_f32_e32 v56, v56, v120                               // 000000005054: 0A70F138
	v_mul_f32_e32 v57, v57, v121                               // 000000005058: 0A72F339
	v_mul_f32_e32 v58, v58, v122                               // 00000000505C: 0A74F53A
	v_mul_f32_e32 v59, v59, v123                               // 000000005060: 0A76F73B
	v_mul_f32_e64 v4, -v60, s6                                 // 000000005064: D1050004 20000D3C
	v_mul_f32_e64 v5, -v61, s6                                 // 00000000506C: D1050005 20000D3D
	v_mul_f32_e64 v6, -v62, s6                                 // 000000005074: D1050006 20000D3E
	v_mul_f32_e64 v7, -v63, s6                                 // 00000000507C: D1050007 20000D3F
	v_exp_f32_e32 v4, v4                                       // 000000005084: 7E084104
	v_exp_f32_e32 v5, v5                                       // 000000005088: 7E0A4105
	v_exp_f32_e32 v6, v6                                       // 00000000508C: 7E0C4106
	v_exp_f32_e32 v7, v7                                       // 000000005090: 7E0E4107
	v_add_f32_e64 v4, v4, 1.0                                  // 000000005094: D1010004 0001E504
	v_add_f32_e64 v5, v5, 1.0                                  // 00000000509C: D1010005 0001E505
	v_add_f32_e64 v6, v6, 1.0                                  // 0000000050A4: D1010006 0001E506
	v_add_f32_e64 v7, v7, 1.0                                  // 0000000050AC: D1010007 0001E507
	v_rcp_f32_e32 v4, v4                                       // 0000000050B4: 7E084504
	v_rcp_f32_e32 v5, v5                                       // 0000000050B8: 7E0A4505
	v_rcp_f32_e32 v6, v6                                       // 0000000050BC: 7E0C4506
	v_rcp_f32_e32 v7, v7                                       // 0000000050C0: 7E0E4507
	v_mul_f32_e32 v60, v60, v4                                 // 0000000050C4: 0A78093C
	v_mul_f32_e32 v61, v61, v5                                 // 0000000050C8: 0A7A0B3D
	v_mul_f32_e32 v62, v62, v6                                 // 0000000050CC: 0A7C0D3E
	v_mul_f32_e32 v63, v63, v7                                 // 0000000050D0: 0A7E0F3F
	v_mul_f32_e32 v60, v60, v124                               // 0000000050D4: 0A78F93C
	v_mul_f32_e32 v61, v61, v125                               // 0000000050D8: 0A7AFB3D
	v_mul_f32_e32 v62, v62, v126                               // 0000000050DC: 0A7CFD3E
	v_mul_f32_e32 v63, v63, v127                               // 0000000050E0: 0A7EFF3F
	v_mul_f32_e64 v4, -v64, s6                                 // 0000000050E4: D1050004 20000D40
	v_mul_f32_e64 v5, -v65, s6                                 // 0000000050EC: D1050005 20000D41
	v_mul_f32_e64 v6, -v66, s6                                 // 0000000050F4: D1050006 20000D42
	v_mul_f32_e64 v7, -v67, s6                                 // 0000000050FC: D1050007 20000D43
	v_exp_f32_e32 v4, v4                                       // 000000005104: 7E084104
	v_exp_f32_e32 v5, v5                                       // 000000005108: 7E0A4105
	v_exp_f32_e32 v6, v6                                       // 00000000510C: 7E0C4106
	v_exp_f32_e32 v7, v7                                       // 000000005110: 7E0E4107
	v_add_f32_e64 v4, v4, 1.0                                  // 000000005114: D1010004 0001E504
	v_add_f32_e64 v5, v5, 1.0                                  // 00000000511C: D1010005 0001E505
	v_add_f32_e64 v6, v6, 1.0                                  // 000000005124: D1010006 0001E506
	v_add_f32_e64 v7, v7, 1.0                                  // 00000000512C: D1010007 0001E507
	v_rcp_f32_e32 v4, v4                                       // 000000005134: 7E084504
	v_rcp_f32_e32 v5, v5                                       // 000000005138: 7E0A4505
	v_rcp_f32_e32 v6, v6                                       // 00000000513C: 7E0C4506
	v_rcp_f32_e32 v7, v7                                       // 000000005140: 7E0E4507
	v_mul_f32_e32 v64, v64, v4                                 // 000000005144: 0A800940
	v_mul_f32_e32 v65, v65, v5                                 // 000000005148: 0A820B41
	v_mul_f32_e32 v66, v66, v6                                 // 00000000514C: 0A840D42
	v_mul_f32_e32 v67, v67, v7                                 // 000000005150: 0A860F43
	v_mul_f32_e32 v64, v64, v128                               // 000000005154: 0A810140
	v_mul_f32_e32 v65, v65, v129                               // 000000005158: 0A830341
	v_mul_f32_e32 v66, v66, v130                               // 00000000515C: 0A850542
	v_mul_f32_e32 v67, v67, v131                               // 000000005160: 0A870743
	v_mul_f32_e64 v4, -v68, s6                                 // 000000005164: D1050004 20000D44
	v_mul_f32_e64 v5, -v69, s6                                 // 00000000516C: D1050005 20000D45
	v_mul_f32_e64 v6, -v70, s6                                 // 000000005174: D1050006 20000D46
	v_mul_f32_e64 v7, -v71, s6                                 // 00000000517C: D1050007 20000D47
	v_exp_f32_e32 v4, v4                                       // 000000005184: 7E084104
	v_exp_f32_e32 v5, v5                                       // 000000005188: 7E0A4105
	v_exp_f32_e32 v6, v6                                       // 00000000518C: 7E0C4106
	v_exp_f32_e32 v7, v7                                       // 000000005190: 7E0E4107
	v_add_f32_e64 v4, v4, 1.0                                  // 000000005194: D1010004 0001E504
	v_add_f32_e64 v5, v5, 1.0                                  // 00000000519C: D1010005 0001E505
	v_add_f32_e64 v6, v6, 1.0                                  // 0000000051A4: D1010006 0001E506
	v_add_f32_e64 v7, v7, 1.0                                  // 0000000051AC: D1010007 0001E507
	v_rcp_f32_e32 v4, v4                                       // 0000000051B4: 7E084504
	v_rcp_f32_e32 v5, v5                                       // 0000000051B8: 7E0A4505
	v_rcp_f32_e32 v6, v6                                       // 0000000051BC: 7E0C4506
	v_rcp_f32_e32 v7, v7                                       // 0000000051C0: 7E0E4507
	v_mul_f32_e32 v68, v68, v4                                 // 0000000051C4: 0A880944
	v_mul_f32_e32 v69, v69, v5                                 // 0000000051C8: 0A8A0B45
	v_mul_f32_e32 v70, v70, v6                                 // 0000000051CC: 0A8C0D46
	v_mul_f32_e32 v71, v71, v7                                 // 0000000051D0: 0A8E0F47
	v_mul_f32_e32 v68, v68, v132                               // 0000000051D4: 0A890944
	v_mul_f32_e32 v69, v69, v133                               // 0000000051D8: 0A8B0B45
	v_mul_f32_e32 v70, v70, v134                               // 0000000051DC: 0A8D0D46
	v_mul_f32_e32 v71, v71, v135                               // 0000000051E0: 0A8F0F47
	v_mul_f32_e64 v4, -v72, s6                                 // 0000000051E4: D1050004 20000D48
	v_mul_f32_e64 v5, -v73, s6                                 // 0000000051EC: D1050005 20000D49
	v_mul_f32_e64 v6, -v74, s6                                 // 0000000051F4: D1050006 20000D4A
	v_mul_f32_e64 v7, -v75, s6                                 // 0000000051FC: D1050007 20000D4B
	v_exp_f32_e32 v4, v4                                       // 000000005204: 7E084104
	v_exp_f32_e32 v5, v5                                       // 000000005208: 7E0A4105
	v_exp_f32_e32 v6, v6                                       // 00000000520C: 7E0C4106
	v_exp_f32_e32 v7, v7                                       // 000000005210: 7E0E4107
	v_add_f32_e64 v4, v4, 1.0                                  // 000000005214: D1010004 0001E504
	v_add_f32_e64 v5, v5, 1.0                                  // 00000000521C: D1010005 0001E505
	v_add_f32_e64 v6, v6, 1.0                                  // 000000005224: D1010006 0001E506
	v_add_f32_e64 v7, v7, 1.0                                  // 00000000522C: D1010007 0001E507
	v_rcp_f32_e32 v4, v4                                       // 000000005234: 7E084504
	v_rcp_f32_e32 v5, v5                                       // 000000005238: 7E0A4505
	v_rcp_f32_e32 v6, v6                                       // 00000000523C: 7E0C4506
	v_rcp_f32_e32 v7, v7                                       // 000000005240: 7E0E4507
	v_mul_f32_e32 v72, v72, v4                                 // 000000005244: 0A900948
	v_mul_f32_e32 v73, v73, v5                                 // 000000005248: 0A920B49
	v_mul_f32_e32 v74, v74, v6                                 // 00000000524C: 0A940D4A
	v_mul_f32_e32 v75, v75, v7                                 // 000000005250: 0A960F4B
	v_mul_f32_e32 v72, v72, v136                               // 000000005254: 0A911148
	v_mul_f32_e32 v73, v73, v137                               // 000000005258: 0A931349
	v_mul_f32_e32 v74, v74, v138                               // 00000000525C: 0A95154A
	v_mul_f32_e32 v75, v75, v139                               // 000000005260: 0A97174B
	v_mul_f32_e64 v4, -v76, s6                                 // 000000005264: D1050004 20000D4C
	v_mul_f32_e64 v5, -v77, s6                                 // 00000000526C: D1050005 20000D4D
	v_mul_f32_e64 v6, -v78, s6                                 // 000000005274: D1050006 20000D4E
	v_mul_f32_e64 v7, -v79, s6                                 // 00000000527C: D1050007 20000D4F
	v_exp_f32_e32 v4, v4                                       // 000000005284: 7E084104
	v_exp_f32_e32 v5, v5                                       // 000000005288: 7E0A4105
	v_exp_f32_e32 v6, v6                                       // 00000000528C: 7E0C4106
	v_exp_f32_e32 v7, v7                                       // 000000005290: 7E0E4107
	v_add_f32_e64 v4, v4, 1.0                                  // 000000005294: D1010004 0001E504
	v_add_f32_e64 v5, v5, 1.0                                  // 00000000529C: D1010005 0001E505
	v_add_f32_e64 v6, v6, 1.0                                  // 0000000052A4: D1010006 0001E506
	v_add_f32_e64 v7, v7, 1.0                                  // 0000000052AC: D1010007 0001E507
	v_rcp_f32_e32 v4, v4                                       // 0000000052B4: 7E084504
	v_rcp_f32_e32 v5, v5                                       // 0000000052B8: 7E0A4505
	v_rcp_f32_e32 v6, v6                                       // 0000000052BC: 7E0C4506
	v_rcp_f32_e32 v7, v7                                       // 0000000052C0: 7E0E4507
	v_mul_f32_e32 v76, v76, v4                                 // 0000000052C4: 0A98094C
	v_mul_f32_e32 v77, v77, v5                                 // 0000000052C8: 0A9A0B4D
	v_mul_f32_e32 v78, v78, v6                                 // 0000000052CC: 0A9C0D4E
	v_mul_f32_e32 v79, v79, v7                                 // 0000000052D0: 0A9E0F4F
	v_mul_f32_e32 v76, v76, v140                               // 0000000052D4: 0A99194C
	v_mul_f32_e32 v77, v77, v141                               // 0000000052D8: 0A9B1B4D
	v_mul_f32_e32 v78, v78, v142                               // 0000000052DC: 0A9D1D4E
	v_mul_f32_e32 v79, v79, v143                               // 0000000052E0: 0A9F1F4F
	v_mul_f32_e64 v4, -v80, s6                                 // 0000000052E4: D1050004 20000D50
	v_mul_f32_e64 v5, -v81, s6                                 // 0000000052EC: D1050005 20000D51
	v_mul_f32_e64 v6, -v82, s6                                 // 0000000052F4: D1050006 20000D52
	v_mul_f32_e64 v7, -v83, s6                                 // 0000000052FC: D1050007 20000D53
	v_exp_f32_e32 v4, v4                                       // 000000005304: 7E084104
	v_exp_f32_e32 v5, v5                                       // 000000005308: 7E0A4105
	v_exp_f32_e32 v6, v6                                       // 00000000530C: 7E0C4106
	v_exp_f32_e32 v7, v7                                       // 000000005310: 7E0E4107
	v_add_f32_e64 v4, v4, 1.0                                  // 000000005314: D1010004 0001E504
	v_add_f32_e64 v5, v5, 1.0                                  // 00000000531C: D1010005 0001E505
	v_add_f32_e64 v6, v6, 1.0                                  // 000000005324: D1010006 0001E506
	v_add_f32_e64 v7, v7, 1.0                                  // 00000000532C: D1010007 0001E507
	v_rcp_f32_e32 v4, v4                                       // 000000005334: 7E084504
	v_rcp_f32_e32 v5, v5                                       // 000000005338: 7E0A4505
	v_rcp_f32_e32 v6, v6                                       // 00000000533C: 7E0C4506
	v_rcp_f32_e32 v7, v7                                       // 000000005340: 7E0E4507
	v_mul_f32_e32 v80, v80, v4                                 // 000000005344: 0AA00950
	v_mul_f32_e32 v81, v81, v5                                 // 000000005348: 0AA20B51
	v_mul_f32_e32 v82, v82, v6                                 // 00000000534C: 0AA40D52
	v_mul_f32_e32 v83, v83, v7                                 // 000000005350: 0AA60F53
	v_mul_f32_e32 v80, v80, v144                               // 000000005354: 0AA12150
	v_mul_f32_e32 v81, v81, v145                               // 000000005358: 0AA32351
	v_mul_f32_e32 v82, v82, v146                               // 00000000535C: 0AA52552
	v_mul_f32_e32 v83, v83, v147                               // 000000005360: 0AA72753
	v_mul_f32_e64 v4, -v84, s6                                 // 000000005364: D1050004 20000D54
	v_mul_f32_e64 v5, -v85, s6                                 // 00000000536C: D1050005 20000D55
	v_mul_f32_e64 v6, -v86, s6                                 // 000000005374: D1050006 20000D56
	v_mul_f32_e64 v7, -v87, s6                                 // 00000000537C: D1050007 20000D57
	v_exp_f32_e32 v4, v4                                       // 000000005384: 7E084104
	v_exp_f32_e32 v5, v5                                       // 000000005388: 7E0A4105
	v_exp_f32_e32 v6, v6                                       // 00000000538C: 7E0C4106
	v_exp_f32_e32 v7, v7                                       // 000000005390: 7E0E4107
	v_add_f32_e64 v4, v4, 1.0                                  // 000000005394: D1010004 0001E504
	v_add_f32_e64 v5, v5, 1.0                                  // 00000000539C: D1010005 0001E505
	v_add_f32_e64 v6, v6, 1.0                                  // 0000000053A4: D1010006 0001E506
	v_add_f32_e64 v7, v7, 1.0                                  // 0000000053AC: D1010007 0001E507
	v_rcp_f32_e32 v4, v4                                       // 0000000053B4: 7E084504
	v_rcp_f32_e32 v5, v5                                       // 0000000053B8: 7E0A4505
	v_rcp_f32_e32 v6, v6                                       // 0000000053BC: 7E0C4506
	v_rcp_f32_e32 v7, v7                                       // 0000000053C0: 7E0E4507
	v_mul_f32_e32 v84, v84, v4                                 // 0000000053C4: 0AA80954
	v_mul_f32_e32 v85, v85, v5                                 // 0000000053C8: 0AAA0B55
	v_mul_f32_e32 v86, v86, v6                                 // 0000000053CC: 0AAC0D56
	v_mul_f32_e32 v87, v87, v7                                 // 0000000053D0: 0AAE0F57
	v_mul_f32_e32 v84, v84, v148                               // 0000000053D4: 0AA92954
	v_mul_f32_e32 v85, v85, v149                               // 0000000053D8: 0AAB2B55
	v_mul_f32_e32 v86, v86, v150                               // 0000000053DC: 0AAD2D56
	v_mul_f32_e32 v87, v87, v151                               // 0000000053E0: 0AAF2F57
	v_mul_f32_e64 v4, -v88, s6                                 // 0000000053E4: D1050004 20000D58
	v_mul_f32_e64 v5, -v89, s6                                 // 0000000053EC: D1050005 20000D59
	v_mul_f32_e64 v6, -v90, s6                                 // 0000000053F4: D1050006 20000D5A
	v_mul_f32_e64 v7, -v91, s6                                 // 0000000053FC: D1050007 20000D5B
	v_exp_f32_e32 v4, v4                                       // 000000005404: 7E084104
	v_exp_f32_e32 v5, v5                                       // 000000005408: 7E0A4105
	v_exp_f32_e32 v6, v6                                       // 00000000540C: 7E0C4106
	v_exp_f32_e32 v7, v7                                       // 000000005410: 7E0E4107
	v_add_f32_e64 v4, v4, 1.0                                  // 000000005414: D1010004 0001E504
	v_add_f32_e64 v5, v5, 1.0                                  // 00000000541C: D1010005 0001E505
	v_add_f32_e64 v6, v6, 1.0                                  // 000000005424: D1010006 0001E506
	v_add_f32_e64 v7, v7, 1.0                                  // 00000000542C: D1010007 0001E507
	v_rcp_f32_e32 v4, v4                                       // 000000005434: 7E084504
	v_rcp_f32_e32 v5, v5                                       // 000000005438: 7E0A4505
	v_rcp_f32_e32 v6, v6                                       // 00000000543C: 7E0C4506
	v_rcp_f32_e32 v7, v7                                       // 000000005440: 7E0E4507
	v_mul_f32_e32 v88, v88, v4                                 // 000000005444: 0AB00958
	v_mul_f32_e32 v89, v89, v5                                 // 000000005448: 0AB20B59
	v_mul_f32_e32 v90, v90, v6                                 // 00000000544C: 0AB40D5A
	v_mul_f32_e32 v91, v91, v7                                 // 000000005450: 0AB60F5B
	v_mul_f32_e32 v88, v88, v152                               // 000000005454: 0AB13158
	v_mul_f32_e32 v89, v89, v153                               // 000000005458: 0AB33359
	v_mul_f32_e32 v90, v90, v154                               // 00000000545C: 0AB5355A
	v_mul_f32_e32 v91, v91, v155                               // 000000005460: 0AB7375B
	v_mul_f32_e64 v4, -v92, s6                                 // 000000005464: D1050004 20000D5C
	v_mul_f32_e64 v5, -v93, s6                                 // 00000000546C: D1050005 20000D5D
	v_mul_f32_e64 v6, -v94, s6                                 // 000000005474: D1050006 20000D5E
	v_mul_f32_e64 v7, -v95, s6                                 // 00000000547C: D1050007 20000D5F
	v_exp_f32_e32 v4, v4                                       // 000000005484: 7E084104
	v_exp_f32_e32 v5, v5                                       // 000000005488: 7E0A4105
	v_exp_f32_e32 v6, v6                                       // 00000000548C: 7E0C4106
	v_exp_f32_e32 v7, v7                                       // 000000005490: 7E0E4107
	v_add_f32_e64 v4, v4, 1.0                                  // 000000005494: D1010004 0001E504
	v_add_f32_e64 v5, v5, 1.0                                  // 00000000549C: D1010005 0001E505
	v_add_f32_e64 v6, v6, 1.0                                  // 0000000054A4: D1010006 0001E506
	v_add_f32_e64 v7, v7, 1.0                                  // 0000000054AC: D1010007 0001E507
	v_rcp_f32_e32 v4, v4                                       // 0000000054B4: 7E084504
	v_rcp_f32_e32 v5, v5                                       // 0000000054B8: 7E0A4505
	v_rcp_f32_e32 v6, v6                                       // 0000000054BC: 7E0C4506
	v_rcp_f32_e32 v7, v7                                       // 0000000054C0: 7E0E4507
	v_mul_f32_e32 v92, v92, v4                                 // 0000000054C4: 0AB8095C
	v_mul_f32_e32 v93, v93, v5                                 // 0000000054C8: 0ABA0B5D
	v_mul_f32_e32 v94, v94, v6                                 // 0000000054CC: 0ABC0D5E
	v_mul_f32_e32 v95, v95, v7                                 // 0000000054D0: 0ABE0F5F
	v_mul_f32_e32 v92, v92, v156                               // 0000000054D4: 0AB9395C
	v_mul_f32_e32 v93, v93, v157                               // 0000000054D8: 0ABB3B5D
	v_mul_f32_e32 v94, v94, v158                               // 0000000054DC: 0ABD3D5E
	v_mul_f32_e32 v95, v95, v159                               // 0000000054E0: 0ABF3F5F
	v_mul_f32_e64 v4, -v96, s6                                 // 0000000054E4: D1050004 20000D60
	v_mul_f32_e64 v5, -v97, s6                                 // 0000000054EC: D1050005 20000D61
	v_mul_f32_e64 v6, -v98, s6                                 // 0000000054F4: D1050006 20000D62
	v_mul_f32_e64 v7, -v99, s6                                 // 0000000054FC: D1050007 20000D63
	v_exp_f32_e32 v4, v4                                       // 000000005504: 7E084104
	v_exp_f32_e32 v5, v5                                       // 000000005508: 7E0A4105
	v_exp_f32_e32 v6, v6                                       // 00000000550C: 7E0C4106
	v_exp_f32_e32 v7, v7                                       // 000000005510: 7E0E4107
	v_add_f32_e64 v4, v4, 1.0                                  // 000000005514: D1010004 0001E504
	v_add_f32_e64 v5, v5, 1.0                                  // 00000000551C: D1010005 0001E505
	v_add_f32_e64 v6, v6, 1.0                                  // 000000005524: D1010006 0001E506
	v_add_f32_e64 v7, v7, 1.0                                  // 00000000552C: D1010007 0001E507
	v_rcp_f32_e32 v4, v4                                       // 000000005534: 7E084504
	v_rcp_f32_e32 v5, v5                                       // 000000005538: 7E0A4505
	v_rcp_f32_e32 v6, v6                                       // 00000000553C: 7E0C4506
	v_rcp_f32_e32 v7, v7                                       // 000000005540: 7E0E4507
	v_mul_f32_e32 v96, v96, v4                                 // 000000005544: 0AC00960
	v_mul_f32_e32 v97, v97, v5                                 // 000000005548: 0AC20B61
	v_mul_f32_e32 v98, v98, v6                                 // 00000000554C: 0AC40D62
	v_mul_f32_e32 v99, v99, v7                                 // 000000005550: 0AC60F63
	v_mul_f32_e32 v96, v96, v160                               // 000000005554: 0AC14160
	v_mul_f32_e32 v97, v97, v161                               // 000000005558: 0AC34361
	v_mul_f32_e32 v98, v98, v162                               // 00000000555C: 0AC54562
	v_mul_f32_e32 v99, v99, v163                               // 000000005560: 0AC74763
	v_mul_f32_e64 v4, -v100, s6                                // 000000005564: D1050004 20000D64
	v_mul_f32_e64 v5, -v101, s6                                // 00000000556C: D1050005 20000D65
	v_mul_f32_e64 v6, -v102, s6                                // 000000005574: D1050006 20000D66
	v_mul_f32_e64 v7, -v103, s6                                // 00000000557C: D1050007 20000D67
	v_exp_f32_e32 v4, v4                                       // 000000005584: 7E084104
	v_exp_f32_e32 v5, v5                                       // 000000005588: 7E0A4105
	v_exp_f32_e32 v6, v6                                       // 00000000558C: 7E0C4106
	v_exp_f32_e32 v7, v7                                       // 000000005590: 7E0E4107
	v_add_f32_e64 v4, v4, 1.0                                  // 000000005594: D1010004 0001E504
	v_add_f32_e64 v5, v5, 1.0                                  // 00000000559C: D1010005 0001E505
	v_add_f32_e64 v6, v6, 1.0                                  // 0000000055A4: D1010006 0001E506
	v_add_f32_e64 v7, v7, 1.0                                  // 0000000055AC: D1010007 0001E507
	v_rcp_f32_e32 v4, v4                                       // 0000000055B4: 7E084504
	v_rcp_f32_e32 v5, v5                                       // 0000000055B8: 7E0A4505
	v_rcp_f32_e32 v6, v6                                       // 0000000055BC: 7E0C4506
	v_rcp_f32_e32 v7, v7                                       // 0000000055C0: 7E0E4507
	v_mul_f32_e32 v100, v100, v4                               // 0000000055C4: 0AC80964
	v_mul_f32_e32 v101, v101, v5                               // 0000000055C8: 0ACA0B65
	v_mul_f32_e32 v102, v102, v6                               // 0000000055CC: 0ACC0D66
	v_mul_f32_e32 v103, v103, v7                               // 0000000055D0: 0ACE0F67
	v_mul_f32_e32 v100, v100, v164                             // 0000000055D4: 0AC94964
	v_mul_f32_e32 v101, v101, v165                             // 0000000055D8: 0ACB4B65
	v_mul_f32_e32 v102, v102, v166                             // 0000000055DC: 0ACD4D66
	v_mul_f32_e32 v103, v103, v167                             // 0000000055E0: 0ACF4F67
	v_mul_f32_e64 v4, -v104, s6                                // 0000000055E4: D1050004 20000D68
	v_mul_f32_e64 v5, -v105, s6                                // 0000000055EC: D1050005 20000D69
	v_mul_f32_e64 v6, -v106, s6                                // 0000000055F4: D1050006 20000D6A
	v_mul_f32_e64 v7, -v107, s6                                // 0000000055FC: D1050007 20000D6B
	v_exp_f32_e32 v4, v4                                       // 000000005604: 7E084104
	v_exp_f32_e32 v5, v5                                       // 000000005608: 7E0A4105
	v_exp_f32_e32 v6, v6                                       // 00000000560C: 7E0C4106
	v_exp_f32_e32 v7, v7                                       // 000000005610: 7E0E4107
	v_add_f32_e64 v4, v4, 1.0                                  // 000000005614: D1010004 0001E504
	v_add_f32_e64 v5, v5, 1.0                                  // 00000000561C: D1010005 0001E505
	v_add_f32_e64 v6, v6, 1.0                                  // 000000005624: D1010006 0001E506
	v_add_f32_e64 v7, v7, 1.0                                  // 00000000562C: D1010007 0001E507
	v_rcp_f32_e32 v4, v4                                       // 000000005634: 7E084504
	v_rcp_f32_e32 v5, v5                                       // 000000005638: 7E0A4505
	v_rcp_f32_e32 v6, v6                                       // 00000000563C: 7E0C4506
	v_rcp_f32_e32 v7, v7                                       // 000000005640: 7E0E4507
	v_mul_f32_e32 v104, v104, v4                               // 000000005644: 0AD00968
	v_mul_f32_e32 v105, v105, v5                               // 000000005648: 0AD20B69
	v_mul_f32_e32 v106, v106, v6                               // 00000000564C: 0AD40D6A
	v_mul_f32_e32 v107, v107, v7                               // 000000005650: 0AD60F6B
	v_mul_f32_e32 v104, v104, v168                             // 000000005654: 0AD15168
	v_mul_f32_e32 v105, v105, v169                             // 000000005658: 0AD35369
	v_mul_f32_e32 v106, v106, v170                             // 00000000565C: 0AD5556A
	v_mul_f32_e32 v107, v107, v171                             // 000000005660: 0AD7576B
	v_mul_f32_e64 v4, -v108, s6                                // 000000005664: D1050004 20000D6C
	v_mul_f32_e64 v5, -v109, s6                                // 00000000566C: D1050005 20000D6D
	v_mul_f32_e64 v6, -v110, s6                                // 000000005674: D1050006 20000D6E
	v_mul_f32_e64 v7, -v111, s6                                // 00000000567C: D1050007 20000D6F
	v_exp_f32_e32 v4, v4                                       // 000000005684: 7E084104
	v_exp_f32_e32 v5, v5                                       // 000000005688: 7E0A4105
	v_exp_f32_e32 v6, v6                                       // 00000000568C: 7E0C4106
	v_exp_f32_e32 v7, v7                                       // 000000005690: 7E0E4107
	v_add_f32_e64 v4, v4, 1.0                                  // 000000005694: D1010004 0001E504
	v_add_f32_e64 v5, v5, 1.0                                  // 00000000569C: D1010005 0001E505
	v_add_f32_e64 v6, v6, 1.0                                  // 0000000056A4: D1010006 0001E506
	v_add_f32_e64 v7, v7, 1.0                                  // 0000000056AC: D1010007 0001E507
	v_rcp_f32_e32 v4, v4                                       // 0000000056B4: 7E084504
	v_rcp_f32_e32 v5, v5                                       // 0000000056B8: 7E0A4505
	v_rcp_f32_e32 v6, v6                                       // 0000000056BC: 7E0C4506
	v_rcp_f32_e32 v7, v7                                       // 0000000056C0: 7E0E4507
	v_mul_f32_e32 v108, v108, v4                               // 0000000056C4: 0AD8096C
	v_mul_f32_e32 v109, v109, v5                               // 0000000056C8: 0ADA0B6D
	v_mul_f32_e32 v110, v110, v6                               // 0000000056CC: 0ADC0D6E
	v_mul_f32_e32 v111, v111, v7                               // 0000000056D0: 0ADE0F6F
	v_mul_f32_e32 v108, v108, v172                             // 0000000056D4: 0AD9596C
	v_mul_f32_e32 v109, v109, v173                             // 0000000056D8: 0ADB5B6D
	v_mul_f32_e32 v110, v110, v174                             // 0000000056DC: 0ADD5D6E
	v_mul_f32_e32 v111, v111, v175                             // 0000000056E0: 0ADF5F6F
	v_mul_f32_e64 v4, -v112, s6                                // 0000000056E4: D1050004 20000D70
	v_mul_f32_e64 v5, -v113, s6                                // 0000000056EC: D1050005 20000D71
	v_mul_f32_e64 v6, -v114, s6                                // 0000000056F4: D1050006 20000D72
	v_mul_f32_e64 v7, -v115, s6                                // 0000000056FC: D1050007 20000D73
	v_exp_f32_e32 v4, v4                                       // 000000005704: 7E084104
	v_exp_f32_e32 v5, v5                                       // 000000005708: 7E0A4105
	v_exp_f32_e32 v6, v6                                       // 00000000570C: 7E0C4106
	v_exp_f32_e32 v7, v7                                       // 000000005710: 7E0E4107
	v_add_f32_e64 v4, v4, 1.0                                  // 000000005714: D1010004 0001E504
	v_add_f32_e64 v5, v5, 1.0                                  // 00000000571C: D1010005 0001E505
	v_add_f32_e64 v6, v6, 1.0                                  // 000000005724: D1010006 0001E506
	v_add_f32_e64 v7, v7, 1.0                                  // 00000000572C: D1010007 0001E507
	v_rcp_f32_e32 v4, v4                                       // 000000005734: 7E084504
	v_rcp_f32_e32 v5, v5                                       // 000000005738: 7E0A4505
	v_rcp_f32_e32 v6, v6                                       // 00000000573C: 7E0C4506
	v_rcp_f32_e32 v7, v7                                       // 000000005740: 7E0E4507
	v_mul_f32_e32 v112, v112, v4                               // 000000005744: 0AE00970
	v_mul_f32_e32 v113, v113, v5                               // 000000005748: 0AE20B71
	v_mul_f32_e32 v114, v114, v6                               // 00000000574C: 0AE40D72
	v_mul_f32_e32 v115, v115, v7                               // 000000005750: 0AE60F73
	v_mul_f32_e32 v112, v112, v176                             // 000000005754: 0AE16170
	v_mul_f32_e32 v113, v113, v177                             // 000000005758: 0AE36371
	v_mul_f32_e32 v114, v114, v178                             // 00000000575C: 0AE56572
	v_mul_f32_e32 v115, v115, v179                             // 000000005760: 0AE76773

0000000000005764 <label_0B59>:
	v_cmp_u_f32_e64 s[46:47], v52, v52                         // 000000005764: D048002E 00026934
	v_add3_u32 v16, v52, v19, 1                                // 00000000576C: D1FF0010 02062734
	v_cndmask_b32_e64 v4, v16, v18, s[46:47]                   // 000000005774: D1000004 00BA2510
	v_cmp_u_f32_e64 s[46:47], v53, v53                         // 00000000577C: D048002E 00026B35
	v_add3_u32 v16, v53, v19, 1                                // 000000005784: D1FF0010 02062735
	v_cndmask_b32_e64 v5, v16, v18, s[46:47]                   // 00000000578C: D1000005 00BA2510
	v_perm_b32 v52, v5, v4, s52                                // 000000005794: D1ED0034 00D20905
	v_cmp_u_f32_e64 s[46:47], v54, v54                         // 00000000579C: D048002E 00026D36
	v_add3_u32 v16, v54, v19, 1                                // 0000000057A4: D1FF0010 02062736
	v_cndmask_b32_e64 v4, v16, v18, s[46:47]                   // 0000000057AC: D1000004 00BA2510
	v_cmp_u_f32_e64 s[46:47], v55, v55                         // 0000000057B4: D048002E 00026F37
	v_add3_u32 v16, v55, v19, 1                                // 0000000057BC: D1FF0010 02062737
	v_cndmask_b32_e64 v5, v16, v18, s[46:47]                   // 0000000057C4: D1000005 00BA2510
	v_perm_b32 v53, v5, v4, s52                                // 0000000057CC: D1ED0035 00D20905
	v_cmp_u_f32_e64 s[46:47], v56, v56                         // 0000000057D4: D048002E 00027138
	v_add3_u32 v16, v56, v19, 1                                // 0000000057DC: D1FF0010 02062738
	v_cndmask_b32_e64 v4, v16, v18, s[46:47]                   // 0000000057E4: D1000004 00BA2510
	v_cmp_u_f32_e64 s[46:47], v57, v57                         // 0000000057EC: D048002E 00027339
	v_add3_u32 v16, v57, v19, 1                                // 0000000057F4: D1FF0010 02062739
	v_cndmask_b32_e64 v5, v16, v18, s[46:47]                   // 0000000057FC: D1000005 00BA2510
	v_perm_b32 v54, v5, v4, s52                                // 000000005804: D1ED0036 00D20905
	v_cmp_u_f32_e64 s[46:47], v58, v58                         // 00000000580C: D048002E 0002753A
	v_add3_u32 v16, v58, v19, 1                                // 000000005814: D1FF0010 0206273A
	v_cndmask_b32_e64 v4, v16, v18, s[46:47]                   // 00000000581C: D1000004 00BA2510
	v_cmp_u_f32_e64 s[46:47], v59, v59                         // 000000005824: D048002E 0002773B
	v_add3_u32 v16, v59, v19, 1                                // 00000000582C: D1FF0010 0206273B
	v_cndmask_b32_e64 v5, v16, v18, s[46:47]                   // 000000005834: D1000005 00BA2510
	v_perm_b32 v55, v5, v4, s52                                // 00000000583C: D1ED0037 00D20905
	v_cmp_u_f32_e64 s[46:47], v60, v60                         // 000000005844: D048002E 0002793C
	v_add3_u32 v16, v60, v19, 1                                // 00000000584C: D1FF0010 0206273C
	v_cndmask_b32_e64 v4, v16, v18, s[46:47]                   // 000000005854: D1000004 00BA2510
	v_cmp_u_f32_e64 s[46:47], v61, v61                         // 00000000585C: D048002E 00027B3D
	v_add3_u32 v16, v61, v19, 1                                // 000000005864: D1FF0010 0206273D
	v_cndmask_b32_e64 v5, v16, v18, s[46:47]                   // 00000000586C: D1000005 00BA2510
	v_perm_b32 v56, v5, v4, s52                                // 000000005874: D1ED0038 00D20905
	v_cmp_u_f32_e64 s[46:47], v62, v62                         // 00000000587C: D048002E 00027D3E
	v_add3_u32 v16, v62, v19, 1                                // 000000005884: D1FF0010 0206273E
	v_cndmask_b32_e64 v4, v16, v18, s[46:47]                   // 00000000588C: D1000004 00BA2510
	v_cmp_u_f32_e64 s[46:47], v63, v63                         // 000000005894: D048002E 00027F3F
	v_add3_u32 v16, v63, v19, 1                                // 00000000589C: D1FF0010 0206273F
	v_cndmask_b32_e64 v5, v16, v18, s[46:47]                   // 0000000058A4: D1000005 00BA2510
	v_perm_b32 v57, v5, v4, s52                                // 0000000058AC: D1ED0039 00D20905
	v_cmp_u_f32_e64 s[46:47], v64, v64                         // 0000000058B4: D048002E 00028140
	v_add3_u32 v16, v64, v19, 1                                // 0000000058BC: D1FF0010 02062740
	v_cndmask_b32_e64 v4, v16, v18, s[46:47]                   // 0000000058C4: D1000004 00BA2510
	v_cmp_u_f32_e64 s[46:47], v65, v65                         // 0000000058CC: D048002E 00028341
	v_add3_u32 v16, v65, v19, 1                                // 0000000058D4: D1FF0010 02062741
	v_cndmask_b32_e64 v5, v16, v18, s[46:47]                   // 0000000058DC: D1000005 00BA2510
	v_perm_b32 v58, v5, v4, s52                                // 0000000058E4: D1ED003A 00D20905
	v_cmp_u_f32_e64 s[46:47], v66, v66                         // 0000000058EC: D048002E 00028542
	v_add3_u32 v16, v66, v19, 1                                // 0000000058F4: D1FF0010 02062742
	v_cndmask_b32_e64 v4, v16, v18, s[46:47]                   // 0000000058FC: D1000004 00BA2510
	v_cmp_u_f32_e64 s[46:47], v67, v67                         // 000000005904: D048002E 00028743
	v_add3_u32 v16, v67, v19, 1                                // 00000000590C: D1FF0010 02062743
	v_cndmask_b32_e64 v5, v16, v18, s[46:47]                   // 000000005914: D1000005 00BA2510
	v_perm_b32 v59, v5, v4, s52                                // 00000000591C: D1ED003B 00D20905
	v_cmp_u_f32_e64 s[46:47], v68, v68                         // 000000005924: D048002E 00028944
	v_add3_u32 v16, v68, v19, 1                                // 00000000592C: D1FF0010 02062744
	v_cndmask_b32_e64 v4, v16, v18, s[46:47]                   // 000000005934: D1000004 00BA2510
	v_cmp_u_f32_e64 s[46:47], v69, v69                         // 00000000593C: D048002E 00028B45
	v_add3_u32 v16, v69, v19, 1                                // 000000005944: D1FF0010 02062745
	v_cndmask_b32_e64 v5, v16, v18, s[46:47]                   // 00000000594C: D1000005 00BA2510
	v_perm_b32 v60, v5, v4, s52                                // 000000005954: D1ED003C 00D20905
	v_cmp_u_f32_e64 s[46:47], v70, v70                         // 00000000595C: D048002E 00028D46
	v_add3_u32 v16, v70, v19, 1                                // 000000005964: D1FF0010 02062746
	v_cndmask_b32_e64 v4, v16, v18, s[46:47]                   // 00000000596C: D1000004 00BA2510
	v_cmp_u_f32_e64 s[46:47], v71, v71                         // 000000005974: D048002E 00028F47
	v_add3_u32 v16, v71, v19, 1                                // 00000000597C: D1FF0010 02062747
	v_cndmask_b32_e64 v5, v16, v18, s[46:47]                   // 000000005984: D1000005 00BA2510
	v_perm_b32 v61, v5, v4, s52                                // 00000000598C: D1ED003D 00D20905
	v_cmp_u_f32_e64 s[46:47], v72, v72                         // 000000005994: D048002E 00029148
	v_add3_u32 v16, v72, v19, 1                                // 00000000599C: D1FF0010 02062748
	v_cndmask_b32_e64 v4, v16, v18, s[46:47]                   // 0000000059A4: D1000004 00BA2510
	v_cmp_u_f32_e64 s[46:47], v73, v73                         // 0000000059AC: D048002E 00029349
	v_add3_u32 v16, v73, v19, 1                                // 0000000059B4: D1FF0010 02062749
	v_cndmask_b32_e64 v5, v16, v18, s[46:47]                   // 0000000059BC: D1000005 00BA2510
	v_perm_b32 v62, v5, v4, s52                                // 0000000059C4: D1ED003E 00D20905
	v_cmp_u_f32_e64 s[46:47], v74, v74                         // 0000000059CC: D048002E 0002954A
	v_add3_u32 v16, v74, v19, 1                                // 0000000059D4: D1FF0010 0206274A
	v_cndmask_b32_e64 v4, v16, v18, s[46:47]                   // 0000000059DC: D1000004 00BA2510
	v_cmp_u_f32_e64 s[46:47], v75, v75                         // 0000000059E4: D048002E 0002974B
	v_add3_u32 v16, v75, v19, 1                                // 0000000059EC: D1FF0010 0206274B
	v_cndmask_b32_e64 v5, v16, v18, s[46:47]                   // 0000000059F4: D1000005 00BA2510
	v_perm_b32 v63, v5, v4, s52                                // 0000000059FC: D1ED003F 00D20905
	v_cmp_u_f32_e64 s[46:47], v76, v76                         // 000000005A04: D048002E 0002994C
	v_add3_u32 v16, v76, v19, 1                                // 000000005A0C: D1FF0010 0206274C
	v_cndmask_b32_e64 v4, v16, v18, s[46:47]                   // 000000005A14: D1000004 00BA2510
	v_cmp_u_f32_e64 s[46:47], v77, v77                         // 000000005A1C: D048002E 00029B4D
	v_add3_u32 v16, v77, v19, 1                                // 000000005A24: D1FF0010 0206274D
	v_cndmask_b32_e64 v5, v16, v18, s[46:47]                   // 000000005A2C: D1000005 00BA2510
	v_perm_b32 v64, v5, v4, s52                                // 000000005A34: D1ED0040 00D20905
	v_cmp_u_f32_e64 s[46:47], v78, v78                         // 000000005A3C: D048002E 00029D4E
	v_add3_u32 v16, v78, v19, 1                                // 000000005A44: D1FF0010 0206274E
	v_cndmask_b32_e64 v4, v16, v18, s[46:47]                   // 000000005A4C: D1000004 00BA2510
	v_cmp_u_f32_e64 s[46:47], v79, v79                         // 000000005A54: D048002E 00029F4F
	v_add3_u32 v16, v79, v19, 1                                // 000000005A5C: D1FF0010 0206274F
	v_cndmask_b32_e64 v5, v16, v18, s[46:47]                   // 000000005A64: D1000005 00BA2510
	v_perm_b32 v65, v5, v4, s52                                // 000000005A6C: D1ED0041 00D20905
	v_cmp_u_f32_e64 s[46:47], v80, v80                         // 000000005A74: D048002E 0002A150
	v_add3_u32 v16, v80, v19, 1                                // 000000005A7C: D1FF0010 02062750
	v_cndmask_b32_e64 v4, v16, v18, s[46:47]                   // 000000005A84: D1000004 00BA2510
	v_cmp_u_f32_e64 s[46:47], v81, v81                         // 000000005A8C: D048002E 0002A351
	v_add3_u32 v16, v81, v19, 1                                // 000000005A94: D1FF0010 02062751
	v_cndmask_b32_e64 v5, v16, v18, s[46:47]                   // 000000005A9C: D1000005 00BA2510
	v_perm_b32 v66, v5, v4, s52                                // 000000005AA4: D1ED0042 00D20905
	v_cmp_u_f32_e64 s[46:47], v82, v82                         // 000000005AAC: D048002E 0002A552
	v_add3_u32 v16, v82, v19, 1                                // 000000005AB4: D1FF0010 02062752
	v_cndmask_b32_e64 v4, v16, v18, s[46:47]                   // 000000005ABC: D1000004 00BA2510
	v_cmp_u_f32_e64 s[46:47], v83, v83                         // 000000005AC4: D048002E 0002A753
	v_add3_u32 v16, v83, v19, 1                                // 000000005ACC: D1FF0010 02062753
	v_cndmask_b32_e64 v5, v16, v18, s[46:47]                   // 000000005AD4: D1000005 00BA2510
	v_perm_b32 v67, v5, v4, s52                                // 000000005ADC: D1ED0043 00D20905
	v_cmp_u_f32_e64 s[46:47], v84, v84                         // 000000005AE4: D048002E 0002A954
	v_add3_u32 v16, v84, v19, 1                                // 000000005AEC: D1FF0010 02062754
	v_cndmask_b32_e64 v4, v16, v18, s[46:47]                   // 000000005AF4: D1000004 00BA2510
	v_cmp_u_f32_e64 s[46:47], v85, v85                         // 000000005AFC: D048002E 0002AB55
	v_add3_u32 v16, v85, v19, 1                                // 000000005B04: D1FF0010 02062755
	v_cndmask_b32_e64 v5, v16, v18, s[46:47]                   // 000000005B0C: D1000005 00BA2510
	v_perm_b32 v68, v5, v4, s52                                // 000000005B14: D1ED0044 00D20905
	v_cmp_u_f32_e64 s[46:47], v86, v86                         // 000000005B1C: D048002E 0002AD56
	v_add3_u32 v16, v86, v19, 1                                // 000000005B24: D1FF0010 02062756
	v_cndmask_b32_e64 v4, v16, v18, s[46:47]                   // 000000005B2C: D1000004 00BA2510
	v_cmp_u_f32_e64 s[46:47], v87, v87                         // 000000005B34: D048002E 0002AF57
	v_add3_u32 v16, v87, v19, 1                                // 000000005B3C: D1FF0010 02062757
	v_cndmask_b32_e64 v5, v16, v18, s[46:47]                   // 000000005B44: D1000005 00BA2510
	v_perm_b32 v69, v5, v4, s52                                // 000000005B4C: D1ED0045 00D20905
	v_cmp_u_f32_e64 s[46:47], v88, v88                         // 000000005B54: D048002E 0002B158
	v_add3_u32 v16, v88, v19, 1                                // 000000005B5C: D1FF0010 02062758
	v_cndmask_b32_e64 v4, v16, v18, s[46:47]                   // 000000005B64: D1000004 00BA2510
	v_cmp_u_f32_e64 s[46:47], v89, v89                         // 000000005B6C: D048002E 0002B359
	v_add3_u32 v16, v89, v19, 1                                // 000000005B74: D1FF0010 02062759
	v_cndmask_b32_e64 v5, v16, v18, s[46:47]                   // 000000005B7C: D1000005 00BA2510
	v_perm_b32 v70, v5, v4, s52                                // 000000005B84: D1ED0046 00D20905
	v_cmp_u_f32_e64 s[46:47], v90, v90                         // 000000005B8C: D048002E 0002B55A
	v_add3_u32 v16, v90, v19, 1                                // 000000005B94: D1FF0010 0206275A
	v_cndmask_b32_e64 v4, v16, v18, s[46:47]                   // 000000005B9C: D1000004 00BA2510
	v_cmp_u_f32_e64 s[46:47], v91, v91                         // 000000005BA4: D048002E 0002B75B
	v_add3_u32 v16, v91, v19, 1                                // 000000005BAC: D1FF0010 0206275B
	v_cndmask_b32_e64 v5, v16, v18, s[46:47]                   // 000000005BB4: D1000005 00BA2510
	v_perm_b32 v71, v5, v4, s52                                // 000000005BBC: D1ED0047 00D20905
	v_cmp_u_f32_e64 s[46:47], v92, v92                         // 000000005BC4: D048002E 0002B95C
	v_add3_u32 v16, v92, v19, 1                                // 000000005BCC: D1FF0010 0206275C
	v_cndmask_b32_e64 v4, v16, v18, s[46:47]                   // 000000005BD4: D1000004 00BA2510
	v_cmp_u_f32_e64 s[46:47], v93, v93                         // 000000005BDC: D048002E 0002BB5D
	v_add3_u32 v16, v93, v19, 1                                // 000000005BE4: D1FF0010 0206275D
	v_cndmask_b32_e64 v5, v16, v18, s[46:47]                   // 000000005BEC: D1000005 00BA2510
	v_perm_b32 v72, v5, v4, s52                                // 000000005BF4: D1ED0048 00D20905
	v_cmp_u_f32_e64 s[46:47], v94, v94                         // 000000005BFC: D048002E 0002BD5E
	v_add3_u32 v16, v94, v19, 1                                // 000000005C04: D1FF0010 0206275E
	v_cndmask_b32_e64 v4, v16, v18, s[46:47]                   // 000000005C0C: D1000004 00BA2510
	v_cmp_u_f32_e64 s[46:47], v95, v95                         // 000000005C14: D048002E 0002BF5F
	v_add3_u32 v16, v95, v19, 1                                // 000000005C1C: D1FF0010 0206275F
	v_cndmask_b32_e64 v5, v16, v18, s[46:47]                   // 000000005C24: D1000005 00BA2510
	v_perm_b32 v73, v5, v4, s52                                // 000000005C2C: D1ED0049 00D20905
	v_cmp_u_f32_e64 s[46:47], v96, v96                         // 000000005C34: D048002E 0002C160
	v_add3_u32 v16, v96, v19, 1                                // 000000005C3C: D1FF0010 02062760
	v_cndmask_b32_e64 v4, v16, v18, s[46:47]                   // 000000005C44: D1000004 00BA2510
	v_cmp_u_f32_e64 s[46:47], v97, v97                         // 000000005C4C: D048002E 0002C361
	v_add3_u32 v16, v97, v19, 1                                // 000000005C54: D1FF0010 02062761
	v_cndmask_b32_e64 v5, v16, v18, s[46:47]                   // 000000005C5C: D1000005 00BA2510
	v_perm_b32 v74, v5, v4, s52                                // 000000005C64: D1ED004A 00D20905
	v_cmp_u_f32_e64 s[46:47], v98, v98                         // 000000005C6C: D048002E 0002C562
	v_add3_u32 v16, v98, v19, 1                                // 000000005C74: D1FF0010 02062762
	v_cndmask_b32_e64 v4, v16, v18, s[46:47]                   // 000000005C7C: D1000004 00BA2510
	v_cmp_u_f32_e64 s[46:47], v99, v99                         // 000000005C84: D048002E 0002C763
	v_add3_u32 v16, v99, v19, 1                                // 000000005C8C: D1FF0010 02062763
	v_cndmask_b32_e64 v5, v16, v18, s[46:47]                   // 000000005C94: D1000005 00BA2510
	v_perm_b32 v75, v5, v4, s52                                // 000000005C9C: D1ED004B 00D20905
	v_cmp_u_f32_e64 s[46:47], v100, v100                       // 000000005CA4: D048002E 0002C964
	v_add3_u32 v16, v100, v19, 1                               // 000000005CAC: D1FF0010 02062764
	v_cndmask_b32_e64 v4, v16, v18, s[46:47]                   // 000000005CB4: D1000004 00BA2510
	v_cmp_u_f32_e64 s[46:47], v101, v101                       // 000000005CBC: D048002E 0002CB65
	v_add3_u32 v16, v101, v19, 1                               // 000000005CC4: D1FF0010 02062765
	v_cndmask_b32_e64 v5, v16, v18, s[46:47]                   // 000000005CCC: D1000005 00BA2510
	v_perm_b32 v76, v5, v4, s52                                // 000000005CD4: D1ED004C 00D20905
	v_cmp_u_f32_e64 s[46:47], v102, v102                       // 000000005CDC: D048002E 0002CD66
	v_add3_u32 v16, v102, v19, 1                               // 000000005CE4: D1FF0010 02062766
	v_cndmask_b32_e64 v4, v16, v18, s[46:47]                   // 000000005CEC: D1000004 00BA2510
	v_cmp_u_f32_e64 s[46:47], v103, v103                       // 000000005CF4: D048002E 0002CF67
	v_add3_u32 v16, v103, v19, 1                               // 000000005CFC: D1FF0010 02062767
	v_cndmask_b32_e64 v5, v16, v18, s[46:47]                   // 000000005D04: D1000005 00BA2510
	v_perm_b32 v77, v5, v4, s52                                // 000000005D0C: D1ED004D 00D20905
	v_cmp_u_f32_e64 s[46:47], v104, v104                       // 000000005D14: D048002E 0002D168
	v_add3_u32 v16, v104, v19, 1                               // 000000005D1C: D1FF0010 02062768
	v_cndmask_b32_e64 v4, v16, v18, s[46:47]                   // 000000005D24: D1000004 00BA2510
	v_cmp_u_f32_e64 s[46:47], v105, v105                       // 000000005D2C: D048002E 0002D369
	v_add3_u32 v16, v105, v19, 1                               // 000000005D34: D1FF0010 02062769
	v_cndmask_b32_e64 v5, v16, v18, s[46:47]                   // 000000005D3C: D1000005 00BA2510
	v_perm_b32 v78, v5, v4, s52                                // 000000005D44: D1ED004E 00D20905
	v_cmp_u_f32_e64 s[46:47], v106, v106                       // 000000005D4C: D048002E 0002D56A
	v_add3_u32 v16, v106, v19, 1                               // 000000005D54: D1FF0010 0206276A
	v_cndmask_b32_e64 v4, v16, v18, s[46:47]                   // 000000005D5C: D1000004 00BA2510
	v_cmp_u_f32_e64 s[46:47], v107, v107                       // 000000005D64: D048002E 0002D76B
	v_add3_u32 v16, v107, v19, 1                               // 000000005D6C: D1FF0010 0206276B
	v_cndmask_b32_e64 v5, v16, v18, s[46:47]                   // 000000005D74: D1000005 00BA2510
	v_perm_b32 v79, v5, v4, s52                                // 000000005D7C: D1ED004F 00D20905
	v_cmp_u_f32_e64 s[46:47], v108, v108                       // 000000005D84: D048002E 0002D96C
	v_add3_u32 v16, v108, v19, 1                               // 000000005D8C: D1FF0010 0206276C
	v_cndmask_b32_e64 v4, v16, v18, s[46:47]                   // 000000005D94: D1000004 00BA2510
	v_cmp_u_f32_e64 s[46:47], v109, v109                       // 000000005D9C: D048002E 0002DB6D
	v_add3_u32 v16, v109, v19, 1                               // 000000005DA4: D1FF0010 0206276D
	v_cndmask_b32_e64 v5, v16, v18, s[46:47]                   // 000000005DAC: D1000005 00BA2510
	v_perm_b32 v80, v5, v4, s52                                // 000000005DB4: D1ED0050 00D20905
	v_cmp_u_f32_e64 s[46:47], v110, v110                       // 000000005DBC: D048002E 0002DD6E
	v_add3_u32 v16, v110, v19, 1                               // 000000005DC4: D1FF0010 0206276E
	v_cndmask_b32_e64 v4, v16, v18, s[46:47]                   // 000000005DCC: D1000004 00BA2510
	v_cmp_u_f32_e64 s[46:47], v111, v111                       // 000000005DD4: D048002E 0002DF6F
	v_add3_u32 v16, v111, v19, 1                               // 000000005DDC: D1FF0010 0206276F
	v_cndmask_b32_e64 v5, v16, v18, s[46:47]                   // 000000005DE4: D1000005 00BA2510
	v_perm_b32 v81, v5, v4, s52                                // 000000005DEC: D1ED0051 00D20905
	v_cmp_u_f32_e64 s[46:47], v112, v112                       // 000000005DF4: D048002E 0002E170
	v_add3_u32 v16, v112, v19, 1                               // 000000005DFC: D1FF0010 02062770
	v_cndmask_b32_e64 v4, v16, v18, s[46:47]                   // 000000005E04: D1000004 00BA2510
	v_cmp_u_f32_e64 s[46:47], v113, v113                       // 000000005E0C: D048002E 0002E371
	v_add3_u32 v16, v113, v19, 1                               // 000000005E14: D1FF0010 02062771
	v_cndmask_b32_e64 v5, v16, v18, s[46:47]                   // 000000005E1C: D1000005 00BA2510
	v_perm_b32 v82, v5, v4, s52                                // 000000005E24: D1ED0052 00D20905
	v_cmp_u_f32_e64 s[46:47], v114, v114                       // 000000005E2C: D048002E 0002E572
	v_add3_u32 v16, v114, v19, 1                               // 000000005E34: D1FF0010 02062772
	v_cndmask_b32_e64 v4, v16, v18, s[46:47]                   // 000000005E3C: D1000004 00BA2510
	v_cmp_u_f32_e64 s[46:47], v115, v115                       // 000000005E44: D048002E 0002E773
	v_add3_u32 v16, v115, v19, 1                               // 000000005E4C: D1FF0010 02062773
	v_cndmask_b32_e64 v5, v16, v18, s[46:47]                   // 000000005E54: D1000005 00BA2510
	v_perm_b32 v83, v5, v4, s52                                // 000000005E5C: D1ED0053 00D20905
	ds_write_b64 v20, v[52:53]                                 // 000000005E64: D89A0000 00003414
	ds_write_b64 v20, v[54:55] offset:17408                    // 000000005E6C: D89A4400 00003614
	ds_write_b64 v20, v[56:57] offset:2176                     // 000000005E74: D89A0880 00003814
	ds_write_b64 v20, v[58:59] offset:19584                    // 000000005E7C: D89A4C80 00003A14
	ds_write_b64 v20, v[60:61] offset:4352                     // 000000005E84: D89A1100 00003C14
	ds_write_b64 v20, v[62:63] offset:21760                    // 000000005E8C: D89A5500 00003E14
	ds_write_b64 v20, v[64:65] offset:6528                     // 000000005E94: D89A1980 00004014
	ds_write_b64 v20, v[66:67] offset:23936                    // 000000005E9C: D89A5D80 00004214
	ds_write_b64 v20, v[68:69] offset:8704                     // 000000005EA4: D89A2200 00004414
	ds_write_b64 v20, v[70:71] offset:26112                    // 000000005EAC: D89A6600 00004614
	ds_write_b64 v20, v[72:73] offset:10880                    // 000000005EB4: D89A2A80 00004814
	ds_write_b64 v20, v[74:75] offset:28288                    // 000000005EBC: D89A6E80 00004A14
	ds_write_b64 v20, v[76:77] offset:13056                    // 000000005EC4: D89A3300 00004C14
	ds_write_b64 v20, v[78:79] offset:30464                    // 000000005ECC: D89A7700 00004E14
	ds_write_b64 v20, v[80:81] offset:15232                    // 000000005ED4: D89A3B80 00005014
	ds_write_b64 v20, v[82:83] offset:32640                    // 000000005EDC: D89A7F80 00005214
	v_lshrrev_b32_e32 v4, 5, v0                                // 000000005EE4: 20080085
	v_xor_b32_e32 v5, 1, v4                                    // 000000005EE8: 2A0A0881
	s_mul_i32 s60, s65, 2                                      // 000000005EEC: 923C8241
	s_cmp_eq_u32 s88, 0                                        // 000000005EF0: BF068058
	s_cselect_b32 s61, 1, 4                                    // 000000005EF4: 853D8481
	s_mul_i32 s60, s61, s60                                    // 000000005EF8: 923C3C3D
	v_readlane_b32 s82, v3, 0                                  // 000000005EFC: D2890052 00010103
	s_lshr_b32 s61, s82, 24                                    // 000000005F04: 8F3D9852
	s_and_b32 s82, s82, 0xffffff                               // 000000005F08: 8652FF52 00FFFFFF
	s_mul_i32 s82, s82, s71                                    // 000000005F10: 92524752
	s_mul_i32 s61, s60, s61                                    // 000000005F14: 923D3D3C
	s_add_u32 s82, s82, s61                                    // 000000005F18: 80523D52
	v_mul_lo_u32 v6, v5, s82                                   // 000000005F1C: D2850006 0000A505
	v_readlane_b32 s82, v3, 1                                  // 000000005F24: D2890052 00010303
	s_lshr_b32 s61, s82, 24                                    // 000000005F2C: 8F3D9852
	s_and_b32 s82, s82, 0xffffff                               // 000000005F30: 8652FF52 00FFFFFF
	s_mul_i32 s82, s82, s71                                    // 000000005F38: 92524752
	s_mul_i32 s61, s60, s61                                    // 000000005F3C: 923D3D3C
	s_add_u32 s82, s82, s61                                    // 000000005F40: 80523D52
	v_mul_lo_u32 v7, v4, s82                                   // 000000005F44: D2850007 0000A504
	v_add_u32_e32 v37, v6, v7                                  // 000000005F4C: 684A0F06
	v_readlane_b32 s82, v3, 2                                  // 000000005F50: D2890052 00010503
	s_lshr_b32 s61, s82, 24                                    // 000000005F58: 8F3D9852
	s_and_b32 s82, s82, 0xffffff                               // 000000005F5C: 8652FF52 00FFFFFF
	s_mul_i32 s82, s82, s71                                    // 000000005F64: 92524752
	s_mul_i32 s61, s60, s61                                    // 000000005F68: 923D3D3C
	s_add_u32 s82, s82, s61                                    // 000000005F6C: 80523D52
	v_mul_lo_u32 v6, v5, s82                                   // 000000005F70: D2850006 0000A505
	v_readlane_b32 s82, v3, 3                                  // 000000005F78: D2890052 00010703
	s_lshr_b32 s61, s82, 24                                    // 000000005F80: 8F3D9852
	s_and_b32 s82, s82, 0xffffff                               // 000000005F84: 8652FF52 00FFFFFF
	s_mul_i32 s82, s82, s71                                    // 000000005F8C: 92524752
	s_mul_i32 s61, s60, s61                                    // 000000005F90: 923D3D3C
	s_add_u32 s82, s82, s61                                    // 000000005F94: 80523D52
	v_mul_lo_u32 v7, v4, s82                                   // 000000005F98: D2850007 0000A504
	v_add_u32_e32 v38, v6, v7                                  // 000000005FA0: 684C0F06
	v_readlane_b32 s82, v3, 4                                  // 000000005FA4: D2890052 00010903
	s_lshr_b32 s61, s82, 24                                    // 000000005FAC: 8F3D9852
	s_and_b32 s82, s82, 0xffffff                               // 000000005FB0: 8652FF52 00FFFFFF
	s_mul_i32 s82, s82, s71                                    // 000000005FB8: 92524752
	s_mul_i32 s61, s60, s61                                    // 000000005FBC: 923D3D3C
	s_add_u32 s82, s82, s61                                    // 000000005FC0: 80523D52
	v_mul_lo_u32 v6, v5, s82                                   // 000000005FC4: D2850006 0000A505
	v_readlane_b32 s82, v3, 5                                  // 000000005FCC: D2890052 00010B03
	s_lshr_b32 s61, s82, 24                                    // 000000005FD4: 8F3D9852
	s_and_b32 s82, s82, 0xffffff                               // 000000005FD8: 8652FF52 00FFFFFF
	s_mul_i32 s82, s82, s71                                    // 000000005FE0: 92524752
	s_mul_i32 s61, s60, s61                                    // 000000005FE4: 923D3D3C
	s_add_u32 s82, s82, s61                                    // 000000005FE8: 80523D52
	v_mul_lo_u32 v7, v4, s82                                   // 000000005FEC: D2850007 0000A504
	v_add_u32_e32 v39, v6, v7                                  // 000000005FF4: 684E0F06
	v_readlane_b32 s82, v3, 6                                  // 000000005FF8: D2890052 00010D03
	s_lshr_b32 s61, s82, 24                                    // 000000006000: 8F3D9852
	s_and_b32 s82, s82, 0xffffff                               // 000000006004: 8652FF52 00FFFFFF
	s_mul_i32 s82, s82, s71                                    // 00000000600C: 92524752
	s_mul_i32 s61, s60, s61                                    // 000000006010: 923D3D3C
	s_add_u32 s82, s82, s61                                    // 000000006014: 80523D52
	v_mul_lo_u32 v6, v5, s82                                   // 000000006018: D2850006 0000A505
	v_readlane_b32 s82, v3, 7                                  // 000000006020: D2890052 00010F03
	s_lshr_b32 s61, s82, 24                                    // 000000006028: 8F3D9852
	s_and_b32 s82, s82, 0xffffff                               // 00000000602C: 8652FF52 00FFFFFF
	s_mul_i32 s82, s82, s71                                    // 000000006034: 92524752
	s_mul_i32 s61, s60, s61                                    // 000000006038: 923D3D3C
	s_add_u32 s82, s82, s61                                    // 00000000603C: 80523D52
	v_mul_lo_u32 v7, v4, s82                                   // 000000006040: D2850007 0000A504
	v_add_u32_e32 v40, v6, v7                                  // 000000006048: 68500F06
	v_and_b32_e32 v4, 31, v0                                   // 00000000604C: 2608009F
	v_lshrrev_b32_e32 v4, 1, v4                                // 000000006050: 20080881
	s_cmp_eq_u32 s88, 0                                        // 000000006054: BF068058
	s_cselect_b32 s61, 2, 4                                    // 000000006058: 853D8482
	v_mul_lo_u32 v4, v4, s61                                   // 00000000605C: D2850004 00007B04
	v_and_b32_e64 v5, v0, 1                                    // 000000006064: D1130005 00010300
	v_add_u32_e32 v4, v4, v5                                   // 00000000606C: 68080B04
	v_lshlrev_b32_e32 v4, 2, v4                                // 000000006070: 24080882
	v_add_u32_e32 v37, v37, v4                                 // 000000006074: 684A0925
	v_add_u32_e32 v38, v38, v4                                 // 000000006078: 684C0926
	v_add_u32_e32 v39, v39, v4                                 // 00000000607C: 684E0927
	v_add_u32_e32 v40, v40, v4                                 // 000000006080: 68500928
	s_waitcnt lgkmcnt(0)                                       // 000000006084: BF8CC07F
	s_barrier                                                  // 000000006088: BF8A0000
	ds_read_b32 v52, v21                                       // 00000000608C: D86C0000 34000015
	ds_read_b32 v53, v21 offset:64                             // 000000006094: D86C0040 35000015
	ds_read_b32 v54, v21 offset:2176                           // 00000000609C: D86C0880 36000015
	ds_read_b32 v55, v21 offset:2240                           // 0000000060A4: D86C08C0 37000015
	ds_read_b32 v56, v21 offset:4352                           // 0000000060AC: D86C1100 38000015
	ds_read_b32 v57, v21 offset:4416                           // 0000000060B4: D86C1140 39000015
	ds_read_b32 v58, v21 offset:6528                           // 0000000060BC: D86C1980 3A000015
	ds_read_b32 v59, v21 offset:6592                           // 0000000060C4: D86C19C0 3B000015
	ds_read_b32 v60, v21 offset:8704                           // 0000000060CC: D86C2200 3C000015
	ds_read_b32 v61, v21 offset:8768                           // 0000000060D4: D86C2240 3D000015
	ds_read_b32 v62, v21 offset:10880                          // 0000000060DC: D86C2A80 3E000015
	ds_read_b32 v63, v21 offset:10944                          // 0000000060E4: D86C2AC0 3F000015
	ds_read_b32 v64, v21 offset:13056                          // 0000000060EC: D86C3300 40000015
	ds_read_b32 v65, v21 offset:13120                          // 0000000060F4: D86C3340 41000015
	ds_read_b32 v66, v21 offset:15232                          // 0000000060FC: D86C3B80 42000015
	ds_read_b32 v67, v21 offset:15296                          // 000000006104: D86C3BC0 43000015
	ds_read_b32 v68, v21 offset:17408                          // 00000000610C: D86C4400 44000015
	ds_read_b32 v69, v21 offset:17472                          // 000000006114: D86C4440 45000015
	ds_read_b32 v70, v21 offset:19584                          // 00000000611C: D86C4C80 46000015
	ds_read_b32 v71, v21 offset:19648                          // 000000006124: D86C4CC0 47000015
	ds_read_b32 v72, v21 offset:21760                          // 00000000612C: D86C5500 48000015
	ds_read_b32 v73, v21 offset:21824                          // 000000006134: D86C5540 49000015
	ds_read_b32 v74, v21 offset:23936                          // 00000000613C: D86C5D80 4A000015
	ds_read_b32 v75, v21 offset:24000                          // 000000006144: D86C5DC0 4B000015
	ds_read_b32 v76, v21 offset:26112                          // 00000000614C: D86C6600 4C000015
	ds_read_b32 v77, v21 offset:26176                          // 000000006154: D86C6640 4D000015
	ds_read_b32 v78, v21 offset:28288                          // 00000000615C: D86C6E80 4E000015
	ds_read_b32 v79, v21 offset:28352                          // 000000006164: D86C6EC0 4F000015
	ds_read_b32 v80, v21 offset:30464                          // 00000000616C: D86C7700 50000015
	ds_read_b32 v81, v21 offset:30528                          // 000000006174: D86C7740 51000015
	ds_read_b32 v82, v21 offset:32640                          // 00000000617C: D86C7F80 52000015
	ds_read_b32 v83, v21 offset:32704                          // 000000006184: D86C7FC0 53000015
	s_waitcnt lgkmcnt(0)                                       // 00000000618C: BF8CC07F
	s_mov_b32 s36, -1                                          // 000000006190: BEA400C1
	s_mov_b32 s37, -1                                          // 000000006194: BEA500C1
	v_mov_b32_e32 v7, 0                                        // 000000006198: 7E0E0280
	s_or_b32 s9, s9, 0x40000                                   // 00000000619C: 8709FF09 00040000
	s_mov_b64 exec, s[36:37]                                   // 0000000061A4: BEFE0124
	v_mov_b32_e32 v6, v37                                      // 0000000061A8: 7E0C0325
	s_mov_b64 s[60:61], 0                                      // 0000000061AC: BEBC0180
	v_readlane_b32 s82, v3, 0                                  // 0000000061B0: D2890052 00010103
	s_and_b32 s82, s82, 0xffffff                               // 0000000061B8: 8652FF52 00FFFFFF
	s_cmp_lt_u32 s82, s66                                      // 0000000061C0: BF0A4252
	s_cselect_b32 s20, s36, s60                                // 0000000061C4: 85143C24
	v_readlane_b32 s82, v3, 1                                  // 0000000061C8: D2890052 00010303
	s_and_b32 s82, s82, 0xffffff                               // 0000000061D0: 8652FF52 00FFFFFF
	s_cmp_lt_u32 s82, s66                                      // 0000000061D8: BF0A4252
	s_cselect_b32 s21, s36, s60                                // 0000000061DC: 85153C24
	s_mov_b64 exec, s[20:21]                                   // 0000000061E0: BEFE0114
	buffer_store_dword v52, v6, s[8:11], 0 offen               // 0000000061E4: E0701000 80023406
	buffer_store_dword v54, v6, s[8:11], 0 offen offset:128    // 0000000061EC: E0701080 80023606
	buffer_store_dword v56, v6, s[8:11], 0 offen offset:256    // 0000000061F4: E0701100 80023806
	buffer_store_dword v58, v6, s[8:11], 0 offen offset:384    // 0000000061FC: E0701180 80023A06
	buffer_store_dword v60, v6, s[8:11], 0 offen offset:512    // 000000006204: E0701200 80023C06
	buffer_store_dword v62, v6, s[8:11], 0 offen offset:640    // 00000000620C: E0701280 80023E06
	buffer_store_dword v64, v6, s[8:11], 0 offen offset:768    // 000000006214: E0701300 80024006
	buffer_store_dword v66, v6, s[8:11], 0 offen offset:896    // 00000000621C: E0701380 80024206
	s_mov_b64 exec, s[36:37]                                   // 000000006224: BEFE0124
	v_mov_b32_e32 v6, v38                                      // 000000006228: 7E0C0326
	s_mov_b64 s[60:61], 0                                      // 00000000622C: BEBC0180
	v_readlane_b32 s82, v3, 2                                  // 000000006230: D2890052 00010503
	s_and_b32 s82, s82, 0xffffff                               // 000000006238: 8652FF52 00FFFFFF
	s_cmp_lt_u32 s82, s66                                      // 000000006240: BF0A4252
	s_cselect_b32 s20, s36, s60                                // 000000006244: 85143C24
	v_readlane_b32 s82, v3, 3                                  // 000000006248: D2890052 00010703
	s_and_b32 s82, s82, 0xffffff                               // 000000006250: 8652FF52 00FFFFFF
	s_cmp_lt_u32 s82, s66                                      // 000000006258: BF0A4252
	s_cselect_b32 s21, s36, s60                                // 00000000625C: 85153C24
	s_mov_b64 exec, s[20:21]                                   // 000000006260: BEFE0114
	buffer_store_dword v53, v6, s[8:11], 0 offen               // 000000006264: E0701000 80023506
	buffer_store_dword v55, v6, s[8:11], 0 offen offset:128    // 00000000626C: E0701080 80023706
	buffer_store_dword v57, v6, s[8:11], 0 offen offset:256    // 000000006274: E0701100 80023906
	buffer_store_dword v59, v6, s[8:11], 0 offen offset:384    // 00000000627C: E0701180 80023B06
	buffer_store_dword v61, v6, s[8:11], 0 offen offset:512    // 000000006284: E0701200 80023D06
	buffer_store_dword v63, v6, s[8:11], 0 offen offset:640    // 00000000628C: E0701280 80023F06
	buffer_store_dword v65, v6, s[8:11], 0 offen offset:768    // 000000006294: E0701300 80024106
	buffer_store_dword v67, v6, s[8:11], 0 offen offset:896    // 00000000629C: E0701380 80024306
	s_mov_b64 exec, s[36:37]                                   // 0000000062A4: BEFE0124
	v_mov_b32_e32 v6, v39                                      // 0000000062A8: 7E0C0327
	s_mov_b64 s[60:61], 0                                      // 0000000062AC: BEBC0180
	v_readlane_b32 s82, v3, 4                                  // 0000000062B0: D2890052 00010903
	s_and_b32 s82, s82, 0xffffff                               // 0000000062B8: 8652FF52 00FFFFFF
	s_cmp_lt_u32 s82, s66                                      // 0000000062C0: BF0A4252
	s_cselect_b32 s20, s36, s60                                // 0000000062C4: 85143C24
	v_readlane_b32 s82, v3, 5                                  // 0000000062C8: D2890052 00010B03
	s_and_b32 s82, s82, 0xffffff                               // 0000000062D0: 8652FF52 00FFFFFF
	s_cmp_lt_u32 s82, s66                                      // 0000000062D8: BF0A4252
	s_cselect_b32 s21, s36, s60                                // 0000000062DC: 85153C24
	s_mov_b64 exec, s[20:21]                                   // 0000000062E0: BEFE0114
	buffer_store_dword v68, v6, s[8:11], 0 offen               // 0000000062E4: E0701000 80024406
	buffer_store_dword v70, v6, s[8:11], 0 offen offset:128    // 0000000062EC: E0701080 80024606
	buffer_store_dword v72, v6, s[8:11], 0 offen offset:256    // 0000000062F4: E0701100 80024806
	buffer_store_dword v74, v6, s[8:11], 0 offen offset:384    // 0000000062FC: E0701180 80024A06
	buffer_store_dword v76, v6, s[8:11], 0 offen offset:512    // 000000006304: E0701200 80024C06
	buffer_store_dword v78, v6, s[8:11], 0 offen offset:640    // 00000000630C: E0701280 80024E06
	buffer_store_dword v80, v6, s[8:11], 0 offen offset:768    // 000000006314: E0701300 80025006
	buffer_store_dword v82, v6, s[8:11], 0 offen offset:896    // 00000000631C: E0701380 80025206
	s_mov_b64 exec, s[36:37]                                   // 000000006324: BEFE0124
	v_mov_b32_e32 v6, v40                                      // 000000006328: 7E0C0328
	s_mov_b64 s[60:61], 0                                      // 00000000632C: BEBC0180
	v_readlane_b32 s82, v3, 6                                  // 000000006330: D2890052 00010D03
	s_and_b32 s82, s82, 0xffffff                               // 000000006338: 8652FF52 00FFFFFF
	s_cmp_lt_u32 s82, s66                                      // 000000006340: BF0A4252
	s_cselect_b32 s20, s36, s60                                // 000000006344: 85143C24
	v_readlane_b32 s82, v3, 7                                  // 000000006348: D2890052 00010F03
	s_and_b32 s82, s82, 0xffffff                               // 000000006350: 8652FF52 00FFFFFF
	s_cmp_lt_u32 s82, s66                                      // 000000006358: BF0A4252
	s_cselect_b32 s21, s36, s60                                // 00000000635C: 85153C24
	s_mov_b64 exec, s[20:21]                                   // 000000006360: BEFE0114
	buffer_store_dword v69, v6, s[8:11], 0 offen               // 000000006364: E0701000 80024506
	buffer_store_dword v71, v6, s[8:11], 0 offen offset:128    // 00000000636C: E0701080 80024706
	buffer_store_dword v73, v6, s[8:11], 0 offen offset:256    // 000000006374: E0701100 80024906
	buffer_store_dword v75, v6, s[8:11], 0 offen offset:384    // 00000000637C: E0701180 80024B06
	buffer_store_dword v77, v6, s[8:11], 0 offen offset:512    // 000000006384: E0701200 80024D06
	buffer_store_dword v79, v6, s[8:11], 0 offen offset:640    // 00000000638C: E0701280 80024F06
	buffer_store_dword v81, v6, s[8:11], 0 offen offset:768    // 000000006394: E0701300 80025106
	buffer_store_dword v83, v6, s[8:11], 0 offen offset:896    // 00000000639C: E0701380 80025306
	s_mov_b64 exec, s[36:37]                                   // 0000000063A4: BEFE0124
	s_branch label_2280                                        // 0000000063A8: BF821412

00000000000063ac <label_0E6B>:
	ds_write_b64 v20, v[52:53]                                 // 0000000063AC: D89A0000 00003414
	ds_write_b64 v20, v[56:57] offset:17408                    // 0000000063B4: D89A4400 00003814
	ds_write_b64 v20, v[60:61] offset:2176                     // 0000000063BC: D89A0880 00003C14
	ds_write_b64 v20, v[64:65] offset:19584                    // 0000000063C4: D89A4C80 00004014
	ds_write_b64 v20, v[68:69] offset:4352                     // 0000000063CC: D89A1100 00004414
	ds_write_b64 v20, v[72:73] offset:21760                    // 0000000063D4: D89A5500 00004814
	ds_write_b64 v20, v[76:77] offset:6528                     // 0000000063DC: D89A1980 00004C14
	ds_write_b64 v20, v[80:81] offset:23936                    // 0000000063E4: D89A5D80 00005014
	ds_write_b64 v20, v[84:85] offset:8704                     // 0000000063EC: D89A2200 00005414
	ds_write_b64 v20, v[88:89] offset:26112                    // 0000000063F4: D89A6600 00005814
	ds_write_b64 v20, v[92:93] offset:10880                    // 0000000063FC: D89A2A80 00005C14
	ds_write_b64 v20, v[96:97] offset:28288                    // 000000006404: D89A6E80 00006014
	ds_write_b64 v20, v[100:101] offset:13056                  // 00000000640C: D89A3300 00006414
	ds_write_b64 v20, v[104:105] offset:30464                  // 000000006414: D89A7700 00006814
	ds_write_b64 v20, v[108:109] offset:15232                  // 00000000641C: D89A3B80 00006C14
	ds_write_b64 v20, v[112:113] offset:32640                  // 000000006424: D89A7F80 00007014
	v_lshrrev_b32_e32 v4, 5, v0                                // 00000000642C: 20080085
	v_xor_b32_e32 v5, 1, v4                                    // 000000006430: 2A0A0881
	s_mul_i32 s60, s65, 2                                      // 000000006434: 923C8241
	s_cmp_eq_u32 s88, 0                                        // 000000006438: BF068058
	s_cselect_b32 s61, 1, 4                                    // 00000000643C: 853D8481
	s_mul_i32 s60, s61, s60                                    // 000000006440: 923C3C3D
	v_readlane_b32 s82, v3, 0                                  // 000000006444: D2890052 00010103
	s_lshr_b32 s61, s82, 24                                    // 00000000644C: 8F3D9852
	s_and_b32 s82, s82, 0xffffff                               // 000000006450: 8652FF52 00FFFFFF
	s_mul_i32 s82, s82, s71                                    // 000000006458: 92524752
	s_mul_i32 s61, s60, s61                                    // 00000000645C: 923D3D3C
	s_add_u32 s82, s82, s61                                    // 000000006460: 80523D52
	v_mul_lo_u32 v6, v5, s82                                   // 000000006464: D2850006 0000A505
	v_readlane_b32 s82, v3, 1                                  // 00000000646C: D2890052 00010303
	s_lshr_b32 s61, s82, 24                                    // 000000006474: 8F3D9852
	s_and_b32 s82, s82, 0xffffff                               // 000000006478: 8652FF52 00FFFFFF
	s_mul_i32 s82, s82, s71                                    // 000000006480: 92524752
	s_mul_i32 s61, s60, s61                                    // 000000006484: 923D3D3C
	s_add_u32 s82, s82, s61                                    // 000000006488: 80523D52
	v_mul_lo_u32 v7, v4, s82                                   // 00000000648C: D2850007 0000A504
	v_add_u32_e32 v37, v6, v7                                  // 000000006494: 684A0F06
	v_readlane_b32 s82, v3, 2                                  // 000000006498: D2890052 00010503
	s_lshr_b32 s61, s82, 24                                    // 0000000064A0: 8F3D9852
	s_and_b32 s82, s82, 0xffffff                               // 0000000064A4: 8652FF52 00FFFFFF
	s_mul_i32 s82, s82, s71                                    // 0000000064AC: 92524752
	s_mul_i32 s61, s60, s61                                    // 0000000064B0: 923D3D3C
	s_add_u32 s82, s82, s61                                    // 0000000064B4: 80523D52
	v_mul_lo_u32 v6, v5, s82                                   // 0000000064B8: D2850006 0000A505
	v_readlane_b32 s82, v3, 3                                  // 0000000064C0: D2890052 00010703
	s_lshr_b32 s61, s82, 24                                    // 0000000064C8: 8F3D9852
	s_and_b32 s82, s82, 0xffffff                               // 0000000064CC: 8652FF52 00FFFFFF
	s_mul_i32 s82, s82, s71                                    // 0000000064D4: 92524752
	s_mul_i32 s61, s60, s61                                    // 0000000064D8: 923D3D3C
	s_add_u32 s82, s82, s61                                    // 0000000064DC: 80523D52
	v_mul_lo_u32 v7, v4, s82                                   // 0000000064E0: D2850007 0000A504
	v_add_u32_e32 v38, v6, v7                                  // 0000000064E8: 684C0F06
	v_readlane_b32 s82, v3, 4                                  // 0000000064EC: D2890052 00010903
	s_lshr_b32 s61, s82, 24                                    // 0000000064F4: 8F3D9852
	s_and_b32 s82, s82, 0xffffff                               // 0000000064F8: 8652FF52 00FFFFFF
	s_mul_i32 s82, s82, s71                                    // 000000006500: 92524752
	s_mul_i32 s61, s60, s61                                    // 000000006504: 923D3D3C
	s_add_u32 s82, s82, s61                                    // 000000006508: 80523D52
	v_mul_lo_u32 v6, v5, s82                                   // 00000000650C: D2850006 0000A505
	v_readlane_b32 s82, v3, 5                                  // 000000006514: D2890052 00010B03
	s_lshr_b32 s61, s82, 24                                    // 00000000651C: 8F3D9852
	s_and_b32 s82, s82, 0xffffff                               // 000000006520: 8652FF52 00FFFFFF
	s_mul_i32 s82, s82, s71                                    // 000000006528: 92524752
	s_mul_i32 s61, s60, s61                                    // 00000000652C: 923D3D3C
	s_add_u32 s82, s82, s61                                    // 000000006530: 80523D52
	v_mul_lo_u32 v7, v4, s82                                   // 000000006534: D2850007 0000A504
	v_add_u32_e32 v39, v6, v7                                  // 00000000653C: 684E0F06
	v_readlane_b32 s82, v3, 6                                  // 000000006540: D2890052 00010D03
	s_lshr_b32 s61, s82, 24                                    // 000000006548: 8F3D9852
	s_and_b32 s82, s82, 0xffffff                               // 00000000654C: 8652FF52 00FFFFFF
	s_mul_i32 s82, s82, s71                                    // 000000006554: 92524752
	s_mul_i32 s61, s60, s61                                    // 000000006558: 923D3D3C
	s_add_u32 s82, s82, s61                                    // 00000000655C: 80523D52
	v_mul_lo_u32 v6, v5, s82                                   // 000000006560: D2850006 0000A505
	v_readlane_b32 s82, v3, 7                                  // 000000006568: D2890052 00010F03
	s_lshr_b32 s61, s82, 24                                    // 000000006570: 8F3D9852
	s_and_b32 s82, s82, 0xffffff                               // 000000006574: 8652FF52 00FFFFFF
	s_mul_i32 s82, s82, s71                                    // 00000000657C: 92524752
	s_mul_i32 s61, s60, s61                                    // 000000006580: 923D3D3C
	s_add_u32 s82, s82, s61                                    // 000000006584: 80523D52
	v_mul_lo_u32 v7, v4, s82                                   // 000000006588: D2850007 0000A504
	v_add_u32_e32 v40, v6, v7                                  // 000000006590: 68500F06
	v_and_b32_e32 v4, 31, v0                                   // 000000006594: 2608009F
	v_lshrrev_b32_e32 v4, 1, v4                                // 000000006598: 20080881
	s_cmp_eq_u32 s88, 0                                        // 00000000659C: BF068058
	s_cselect_b32 s61, 2, 4                                    // 0000000065A0: 853D8482
	v_mul_lo_u32 v4, v4, s61                                   // 0000000065A4: D2850004 00007B04
	v_and_b32_e64 v5, v0, 1                                    // 0000000065AC: D1130005 00010300
	v_add_u32_e32 v4, v4, v5                                   // 0000000065B4: 68080B04
	v_lshlrev_b32_e32 v4, 2, v4                                // 0000000065B8: 24080882
	v_add_u32_e32 v37, v37, v4                                 // 0000000065BC: 684A0925
	v_add_u32_e32 v38, v38, v4                                 // 0000000065C0: 684C0926
	v_add_u32_e32 v39, v39, v4                                 // 0000000065C4: 684E0927
	v_add_u32_e32 v40, v40, v4                                 // 0000000065C8: 68500928
	s_waitcnt lgkmcnt(0)                                       // 0000000065CC: BF8CC07F
	s_barrier                                                  // 0000000065D0: BF8A0000
	ds_read_b32 v52, v21                                       // 0000000065D4: D86C0000 34000015
	ds_read_b32 v53, v21 offset:64                             // 0000000065DC: D86C0040 35000015
	ds_read_b32 v56, v21 offset:2176                           // 0000000065E4: D86C0880 38000015
	ds_read_b32 v57, v21 offset:2240                           // 0000000065EC: D86C08C0 39000015
	ds_read_b32 v60, v21 offset:4352                           // 0000000065F4: D86C1100 3C000015
	ds_read_b32 v61, v21 offset:4416                           // 0000000065FC: D86C1140 3D000015
	ds_read_b32 v64, v21 offset:6528                           // 000000006604: D86C1980 40000015
	ds_read_b32 v65, v21 offset:6592                           // 00000000660C: D86C19C0 41000015
	ds_read_b32 v68, v21 offset:8704                           // 000000006614: D86C2200 44000015
	ds_read_b32 v69, v21 offset:8768                           // 00000000661C: D86C2240 45000015
	ds_read_b32 v72, v21 offset:10880                          // 000000006624: D86C2A80 48000015
	ds_read_b32 v73, v21 offset:10944                          // 00000000662C: D86C2AC0 49000015
	ds_read_b32 v76, v21 offset:13056                          // 000000006634: D86C3300 4C000015
	ds_read_b32 v77, v21 offset:13120                          // 00000000663C: D86C3340 4D000015
	ds_read_b32 v80, v21 offset:15232                          // 000000006644: D86C3B80 50000015
	ds_read_b32 v81, v21 offset:15296                          // 00000000664C: D86C3BC0 51000015
	ds_read_b32 v84, v21 offset:17408                          // 000000006654: D86C4400 54000015
	ds_read_b32 v85, v21 offset:17472                          // 00000000665C: D86C4440 55000015
	ds_read_b32 v88, v21 offset:19584                          // 000000006664: D86C4C80 58000015
	ds_read_b32 v89, v21 offset:19648                          // 00000000666C: D86C4CC0 59000015
	ds_read_b32 v92, v21 offset:21760                          // 000000006674: D86C5500 5C000015
	ds_read_b32 v93, v21 offset:21824                          // 00000000667C: D86C5540 5D000015
	ds_read_b32 v96, v21 offset:23936                          // 000000006684: D86C5D80 60000015
	ds_read_b32 v97, v21 offset:24000                          // 00000000668C: D86C5DC0 61000015
	ds_read_b32 v100, v21 offset:26112                         // 000000006694: D86C6600 64000015
	ds_read_b32 v101, v21 offset:26176                         // 00000000669C: D86C6640 65000015
	ds_read_b32 v104, v21 offset:28288                         // 0000000066A4: D86C6E80 68000015
	ds_read_b32 v105, v21 offset:28352                         // 0000000066AC: D86C6EC0 69000015
	ds_read_b32 v108, v21 offset:30464                         // 0000000066B4: D86C7700 6C000015
	ds_read_b32 v109, v21 offset:30528                         // 0000000066BC: D86C7740 6D000015
	ds_read_b32 v112, v21 offset:32640                         // 0000000066C4: D86C7F80 70000015
	ds_read_b32 v113, v21 offset:32704                         // 0000000066CC: D86C7FC0 71000015
	s_waitcnt lgkmcnt(0)                                       // 0000000066D4: BF8CC07F
	s_mov_b32 s36, -1                                          // 0000000066D8: BEA400C1
	s_mov_b32 s37, -1                                          // 0000000066DC: BEA500C1
	v_mov_b32_e32 v7, 0                                        // 0000000066E0: 7E0E0280
	s_mov_b64 exec, s[36:37]                                   // 0000000066E4: BEFE0124
	v_mov_b32_e32 v6, v37                                      // 0000000066E8: 7E0C0325
	s_mov_b64 s[60:61], 0                                      // 0000000066EC: BEBC0180
	v_readlane_b32 s82, v3, 0                                  // 0000000066F0: D2890052 00010103
	s_and_b32 s82, s82, 0xffffff                               // 0000000066F8: 8652FF52 00FFFFFF
	s_cmp_lt_u32 s82, s66                                      // 000000006700: BF0A4252
	s_cselect_b32 s20, s36, s60                                // 000000006704: 85143C24
	v_readlane_b32 s82, v3, 1                                  // 000000006708: D2890052 00010303
	s_and_b32 s82, s82, 0xffffff                               // 000000006710: 8652FF52 00FFFFFF
	s_cmp_lt_u32 s82, s66                                      // 000000006718: BF0A4252
	s_cselect_b32 s21, s36, s60                                // 00000000671C: 85153C24
	s_mov_b64 exec, s[20:21]                                   // 000000006720: BEFE0114
	global_atomic_add_f32 v6, v52, s[8:9]                      // 000000006724: DD348000 00083406
	global_atomic_add_f32 v6, v56, s[8:9] offset:256           // 00000000672C: DD348100 00083806
	global_atomic_add_f32 v6, v60, s[8:9] offset:512           // 000000006734: DD348200 00083C06
	global_atomic_add_f32 v6, v64, s[8:9] offset:768           // 00000000673C: DD348300 00084006
	global_atomic_add_f32 v6, v68, s[8:9] offset:1024          // 000000006744: DD348400 00084406
	global_atomic_add_f32 v6, v72, s[8:9] offset:1280          // 00000000674C: DD348500 00084806
	global_atomic_add_f32 v6, v76, s[8:9] offset:1536          // 000000006754: DD348600 00084C06
	global_atomic_add_f32 v6, v80, s[8:9] offset:1792          // 00000000675C: DD348700 00085006
	s_mov_b64 exec, s[36:37]                                   // 000000006764: BEFE0124
	v_mov_b32_e32 v6, v38                                      // 000000006768: 7E0C0326
	s_mov_b64 s[60:61], 0                                      // 00000000676C: BEBC0180
	v_readlane_b32 s82, v3, 2                                  // 000000006770: D2890052 00010503
	s_and_b32 s82, s82, 0xffffff                               // 000000006778: 8652FF52 00FFFFFF
	s_cmp_lt_u32 s82, s66                                      // 000000006780: BF0A4252
	s_cselect_b32 s20, s36, s60                                // 000000006784: 85143C24
	v_readlane_b32 s82, v3, 3                                  // 000000006788: D2890052 00010703
	s_and_b32 s82, s82, 0xffffff                               // 000000006790: 8652FF52 00FFFFFF
	s_cmp_lt_u32 s82, s66                                      // 000000006798: BF0A4252
	s_cselect_b32 s21, s36, s60                                // 00000000679C: 85153C24
	s_mov_b64 exec, s[20:21]                                   // 0000000067A0: BEFE0114
	global_atomic_add_f32 v6, v53, s[8:9]                      // 0000000067A4: DD348000 00083506
	global_atomic_add_f32 v6, v57, s[8:9] offset:256           // 0000000067AC: DD348100 00083906
	global_atomic_add_f32 v6, v61, s[8:9] offset:512           // 0000000067B4: DD348200 00083D06
	global_atomic_add_f32 v6, v65, s[8:9] offset:768           // 0000000067BC: DD348300 00084106
	global_atomic_add_f32 v6, v69, s[8:9] offset:1024          // 0000000067C4: DD348400 00084506
	global_atomic_add_f32 v6, v73, s[8:9] offset:1280          // 0000000067CC: DD348500 00084906
	global_atomic_add_f32 v6, v77, s[8:9] offset:1536          // 0000000067D4: DD348600 00084D06
	global_atomic_add_f32 v6, v81, s[8:9] offset:1792          // 0000000067DC: DD348700 00085106
	s_mov_b64 exec, s[36:37]                                   // 0000000067E4: BEFE0124
	v_mov_b32_e32 v6, v39                                      // 0000000067E8: 7E0C0327
	s_mov_b64 s[60:61], 0                                      // 0000000067EC: BEBC0180
	v_readlane_b32 s82, v3, 4                                  // 0000000067F0: D2890052 00010903
	s_and_b32 s82, s82, 0xffffff                               // 0000000067F8: 8652FF52 00FFFFFF
	s_cmp_lt_u32 s82, s66                                      // 000000006800: BF0A4252
	s_cselect_b32 s20, s36, s60                                // 000000006804: 85143C24
	v_readlane_b32 s82, v3, 5                                  // 000000006808: D2890052 00010B03
	s_and_b32 s82, s82, 0xffffff                               // 000000006810: 8652FF52 00FFFFFF
	s_cmp_lt_u32 s82, s66                                      // 000000006818: BF0A4252
	s_cselect_b32 s21, s36, s60                                // 00000000681C: 85153C24
	s_mov_b64 exec, s[20:21]                                   // 000000006820: BEFE0114
	global_atomic_add_f32 v6, v84, s[8:9]                      // 000000006824: DD348000 00085406
	global_atomic_add_f32 v6, v88, s[8:9] offset:256           // 00000000682C: DD348100 00085806
	global_atomic_add_f32 v6, v92, s[8:9] offset:512           // 000000006834: DD348200 00085C06
	global_atomic_add_f32 v6, v96, s[8:9] offset:768           // 00000000683C: DD348300 00086006
	global_atomic_add_f32 v6, v100, s[8:9] offset:1024         // 000000006844: DD348400 00086406
	global_atomic_add_f32 v6, v104, s[8:9] offset:1280         // 00000000684C: DD348500 00086806
	global_atomic_add_f32 v6, v108, s[8:9] offset:1536         // 000000006854: DD348600 00086C06
	global_atomic_add_f32 v6, v112, s[8:9] offset:1792         // 00000000685C: DD348700 00087006
	s_mov_b64 exec, s[36:37]                                   // 000000006864: BEFE0124
	v_mov_b32_e32 v6, v40                                      // 000000006868: 7E0C0328
	s_mov_b64 s[60:61], 0                                      // 00000000686C: BEBC0180
	v_readlane_b32 s82, v3, 6                                  // 000000006870: D2890052 00010D03
	s_and_b32 s82, s82, 0xffffff                               // 000000006878: 8652FF52 00FFFFFF
	s_cmp_lt_u32 s82, s66                                      // 000000006880: BF0A4252
	s_cselect_b32 s20, s36, s60                                // 000000006884: 85143C24
	v_readlane_b32 s82, v3, 7                                  // 000000006888: D2890052 00010F03
	s_and_b32 s82, s82, 0xffffff                               // 000000006890: 8652FF52 00FFFFFF
	s_cmp_lt_u32 s82, s66                                      // 000000006898: BF0A4252
	s_cselect_b32 s21, s36, s60                                // 00000000689C: 85153C24
	s_mov_b64 exec, s[20:21]                                   // 0000000068A0: BEFE0114
	global_atomic_add_f32 v6, v85, s[8:9]                      // 0000000068A4: DD348000 00085506
	global_atomic_add_f32 v6, v89, s[8:9] offset:256           // 0000000068AC: DD348100 00085906
	global_atomic_add_f32 v6, v93, s[8:9] offset:512           // 0000000068B4: DD348200 00085D06
	global_atomic_add_f32 v6, v97, s[8:9] offset:768           // 0000000068BC: DD348300 00086106
	global_atomic_add_f32 v6, v101, s[8:9] offset:1024         // 0000000068C4: DD348400 00086506
	global_atomic_add_f32 v6, v105, s[8:9] offset:1280         // 0000000068CC: DD348500 00086906
	global_atomic_add_f32 v6, v109, s[8:9] offset:1536         // 0000000068D4: DD348600 00086D06
	global_atomic_add_f32 v6, v113, s[8:9] offset:1792         // 0000000068DC: DD348700 00087106
	s_mov_b64 exec, s[36:37]                                   // 0000000068E4: BEFE0124
	ds_write_b64 v20, v[54:55]                                 // 0000000068E8: D89A0000 00003614
	ds_write_b64 v20, v[58:59] offset:17408                    // 0000000068F0: D89A4400 00003A14
	ds_write_b64 v20, v[62:63] offset:2176                     // 0000000068F8: D89A0880 00003E14
	ds_write_b64 v20, v[66:67] offset:19584                    // 000000006900: D89A4C80 00004214
	ds_write_b64 v20, v[70:71] offset:4352                     // 000000006908: D89A1100 00004614
	ds_write_b64 v20, v[74:75] offset:21760                    // 000000006910: D89A5500 00004A14
	ds_write_b64 v20, v[78:79] offset:6528                     // 000000006918: D89A1980 00004E14
	ds_write_b64 v20, v[82:83] offset:23936                    // 000000006920: D89A5D80 00005214
	ds_write_b64 v20, v[86:87] offset:8704                     // 000000006928: D89A2200 00005614
	ds_write_b64 v20, v[90:91] offset:26112                    // 000000006930: D89A6600 00005A14
	ds_write_b64 v20, v[94:95] offset:10880                    // 000000006938: D89A2A80 00005E14
	ds_write_b64 v20, v[98:99] offset:28288                    // 000000006940: D89A6E80 00006214
	ds_write_b64 v20, v[102:103] offset:13056                  // 000000006948: D89A3300 00006614
	ds_write_b64 v20, v[106:107] offset:30464                  // 000000006950: D89A7700 00006A14
	ds_write_b64 v20, v[110:111] offset:15232                  // 000000006958: D89A3B80 00006E14
	ds_write_b64 v20, v[114:115] offset:32640                  // 000000006960: D89A7F80 00007214
	s_waitcnt lgkmcnt(0)                                       // 000000006968: BF8CC07F
	s_barrier                                                  // 00000000696C: BF8A0000
	ds_read_b32 v54, v21                                       // 000000006970: D86C0000 36000015
	ds_read_b32 v55, v21 offset:64                             // 000000006978: D86C0040 37000015
	ds_read_b32 v58, v21 offset:2176                           // 000000006980: D86C0880 3A000015
	ds_read_b32 v59, v21 offset:2240                           // 000000006988: D86C08C0 3B000015
	ds_read_b32 v62, v21 offset:4352                           // 000000006990: D86C1100 3E000015
	ds_read_b32 v63, v21 offset:4416                           // 000000006998: D86C1140 3F000015
	ds_read_b32 v66, v21 offset:6528                           // 0000000069A0: D86C1980 42000015
	ds_read_b32 v67, v21 offset:6592                           // 0000000069A8: D86C19C0 43000015
	ds_read_b32 v70, v21 offset:8704                           // 0000000069B0: D86C2200 46000015
	ds_read_b32 v71, v21 offset:8768                           // 0000000069B8: D86C2240 47000015
	ds_read_b32 v74, v21 offset:10880                          // 0000000069C0: D86C2A80 4A000015
	ds_read_b32 v75, v21 offset:10944                          // 0000000069C8: D86C2AC0 4B000015
	ds_read_b32 v78, v21 offset:13056                          // 0000000069D0: D86C3300 4E000015
	ds_read_b32 v79, v21 offset:13120                          // 0000000069D8: D86C3340 4F000015
	ds_read_b32 v82, v21 offset:15232                          // 0000000069E0: D86C3B80 52000015
	ds_read_b32 v83, v21 offset:15296                          // 0000000069E8: D86C3BC0 53000015
	ds_read_b32 v86, v21 offset:17408                          // 0000000069F0: D86C4400 56000015
	ds_read_b32 v87, v21 offset:17472                          // 0000000069F8: D86C4440 57000015
	ds_read_b32 v90, v21 offset:19584                          // 000000006A00: D86C4C80 5A000015
	ds_read_b32 v91, v21 offset:19648                          // 000000006A08: D86C4CC0 5B000015
	ds_read_b32 v94, v21 offset:21760                          // 000000006A10: D86C5500 5E000015
	ds_read_b32 v95, v21 offset:21824                          // 000000006A18: D86C5540 5F000015
	ds_read_b32 v98, v21 offset:23936                          // 000000006A20: D86C5D80 62000015
	ds_read_b32 v99, v21 offset:24000                          // 000000006A28: D86C5DC0 63000015
	ds_read_b32 v102, v21 offset:26112                         // 000000006A30: D86C6600 66000015
	ds_read_b32 v103, v21 offset:26176                         // 000000006A38: D86C6640 67000015
	ds_read_b32 v106, v21 offset:28288                         // 000000006A40: D86C6E80 6A000015
	ds_read_b32 v107, v21 offset:28352                         // 000000006A48: D86C6EC0 6B000015
	ds_read_b32 v110, v21 offset:30464                         // 000000006A50: D86C7700 6E000015
	ds_read_b32 v111, v21 offset:30528                         // 000000006A58: D86C7740 6F000015
	ds_read_b32 v114, v21 offset:32640                         // 000000006A60: D86C7F80 72000015
	ds_read_b32 v115, v21 offset:32704                         // 000000006A68: D86C7FC0 73000015
	s_waitcnt lgkmcnt(0)                                       // 000000006A70: BF8CC07F
	v_mov_b32_e32 v7, 0                                        // 000000006A74: 7E0E0280
	s_mov_b64 exec, s[36:37]                                   // 000000006A78: BEFE0124
	v_mov_b32_e32 v6, v37                                      // 000000006A7C: 7E0C0325
	s_mov_b64 s[60:61], 0                                      // 000000006A80: BEBC0180
	v_readlane_b32 s82, v3, 0                                  // 000000006A84: D2890052 00010103
	s_and_b32 s82, s82, 0xffffff                               // 000000006A8C: 8652FF52 00FFFFFF
	s_cmp_lt_u32 s82, s66                                      // 000000006A94: BF0A4252
	s_cselect_b32 s20, s36, s60                                // 000000006A98: 85143C24
	v_readlane_b32 s82, v3, 1                                  // 000000006A9C: D2890052 00010303
	s_and_b32 s82, s82, 0xffffff                               // 000000006AA4: 8652FF52 00FFFFFF
	s_cmp_lt_u32 s82, s66                                      // 000000006AAC: BF0A4252
	s_cselect_b32 s21, s36, s60                                // 000000006AB0: 85153C24
	s_mov_b64 exec, s[20:21]                                   // 000000006AB4: BEFE0114
	global_atomic_add_f32 v6, v54, s[8:9] offset:8             // 000000006AB8: DD348008 00083606
	global_atomic_add_f32 v6, v58, s[8:9] offset:264           // 000000006AC0: DD348108 00083A06
	global_atomic_add_f32 v6, v62, s[8:9] offset:520           // 000000006AC8: DD348208 00083E06
	global_atomic_add_f32 v6, v66, s[8:9] offset:776           // 000000006AD0: DD348308 00084206
	global_atomic_add_f32 v6, v70, s[8:9] offset:1032          // 000000006AD8: DD348408 00084606
	global_atomic_add_f32 v6, v74, s[8:9] offset:1288          // 000000006AE0: DD348508 00084A06
	global_atomic_add_f32 v6, v78, s[8:9] offset:1544          // 000000006AE8: DD348608 00084E06
	global_atomic_add_f32 v6, v82, s[8:9] offset:1800          // 000000006AF0: DD348708 00085206
	s_mov_b64 exec, s[36:37]                                   // 000000006AF8: BEFE0124
	v_mov_b32_e32 v6, v38                                      // 000000006AFC: 7E0C0326
	s_mov_b64 s[60:61], 0                                      // 000000006B00: BEBC0180
	v_readlane_b32 s82, v3, 2                                  // 000000006B04: D2890052 00010503
	s_and_b32 s82, s82, 0xffffff                               // 000000006B0C: 8652FF52 00FFFFFF
	s_cmp_lt_u32 s82, s66                                      // 000000006B14: BF0A4252
	s_cselect_b32 s20, s36, s60                                // 000000006B18: 85143C24
	v_readlane_b32 s82, v3, 3                                  // 000000006B1C: D2890052 00010703
	s_and_b32 s82, s82, 0xffffff                               // 000000006B24: 8652FF52 00FFFFFF
	s_cmp_lt_u32 s82, s66                                      // 000000006B2C: BF0A4252
	s_cselect_b32 s21, s36, s60                                // 000000006B30: 85153C24
	s_mov_b64 exec, s[20:21]                                   // 000000006B34: BEFE0114
	global_atomic_add_f32 v6, v55, s[8:9] offset:8             // 000000006B38: DD348008 00083706
	global_atomic_add_f32 v6, v59, s[8:9] offset:264           // 000000006B40: DD348108 00083B06
	global_atomic_add_f32 v6, v63, s[8:9] offset:520           // 000000006B48: DD348208 00083F06
	global_atomic_add_f32 v6, v67, s[8:9] offset:776           // 000000006B50: DD348308 00084306
	global_atomic_add_f32 v6, v71, s[8:9] offset:1032          // 000000006B58: DD348408 00084706
	global_atomic_add_f32 v6, v75, s[8:9] offset:1288          // 000000006B60: DD348508 00084B06
	global_atomic_add_f32 v6, v79, s[8:9] offset:1544          // 000000006B68: DD348608 00084F06
	global_atomic_add_f32 v6, v83, s[8:9] offset:1800          // 000000006B70: DD348708 00085306
	s_mov_b64 exec, s[36:37]                                   // 000000006B78: BEFE0124
	v_mov_b32_e32 v6, v39                                      // 000000006B7C: 7E0C0327
	s_mov_b64 s[60:61], 0                                      // 000000006B80: BEBC0180
	v_readlane_b32 s82, v3, 4                                  // 000000006B84: D2890052 00010903
	s_and_b32 s82, s82, 0xffffff                               // 000000006B8C: 8652FF52 00FFFFFF
	s_cmp_lt_u32 s82, s66                                      // 000000006B94: BF0A4252
	s_cselect_b32 s20, s36, s60                                // 000000006B98: 85143C24
	v_readlane_b32 s82, v3, 5                                  // 000000006B9C: D2890052 00010B03
	s_and_b32 s82, s82, 0xffffff                               // 000000006BA4: 8652FF52 00FFFFFF
	s_cmp_lt_u32 s82, s66                                      // 000000006BAC: BF0A4252
	s_cselect_b32 s21, s36, s60                                // 000000006BB0: 85153C24
	s_mov_b64 exec, s[20:21]                                   // 000000006BB4: BEFE0114
	global_atomic_add_f32 v6, v86, s[8:9] offset:8             // 000000006BB8: DD348008 00085606
	global_atomic_add_f32 v6, v90, s[8:9] offset:264           // 000000006BC0: DD348108 00085A06
	global_atomic_add_f32 v6, v94, s[8:9] offset:520           // 000000006BC8: DD348208 00085E06
	global_atomic_add_f32 v6, v98, s[8:9] offset:776           // 000000006BD0: DD348308 00086206
	global_atomic_add_f32 v6, v102, s[8:9] offset:1032         // 000000006BD8: DD348408 00086606
	global_atomic_add_f32 v6, v106, s[8:9] offset:1288         // 000000006BE0: DD348508 00086A06
	global_atomic_add_f32 v6, v110, s[8:9] offset:1544         // 000000006BE8: DD348608 00086E06
	global_atomic_add_f32 v6, v114, s[8:9] offset:1800         // 000000006BF0: DD348708 00087206
	s_mov_b64 exec, s[36:37]                                   // 000000006BF8: BEFE0124
	v_mov_b32_e32 v6, v40                                      // 000000006BFC: 7E0C0328
	s_mov_b64 s[60:61], 0                                      // 000000006C00: BEBC0180
	v_readlane_b32 s82, v3, 6                                  // 000000006C04: D2890052 00010D03
	s_and_b32 s82, s82, 0xffffff                               // 000000006C0C: 8652FF52 00FFFFFF
	s_cmp_lt_u32 s82, s66                                      // 000000006C14: BF0A4252
	s_cselect_b32 s20, s36, s60                                // 000000006C18: 85143C24
	v_readlane_b32 s82, v3, 7                                  // 000000006C1C: D2890052 00010F03
	s_and_b32 s82, s82, 0xffffff                               // 000000006C24: 8652FF52 00FFFFFF
	s_cmp_lt_u32 s82, s66                                      // 000000006C2C: BF0A4252
	s_cselect_b32 s21, s36, s60                                // 000000006C30: 85153C24
	s_mov_b64 exec, s[20:21]                                   // 000000006C34: BEFE0114
	global_atomic_add_f32 v6, v87, s[8:9] offset:8             // 000000006C38: DD348008 00085706
	global_atomic_add_f32 v6, v91, s[8:9] offset:264           // 000000006C40: DD348108 00085B06
	global_atomic_add_f32 v6, v95, s[8:9] offset:520           // 000000006C48: DD348208 00085F06
	global_atomic_add_f32 v6, v99, s[8:9] offset:776           // 000000006C50: DD348308 00086306
	global_atomic_add_f32 v6, v103, s[8:9] offset:1032         // 000000006C58: DD348408 00086706
	global_atomic_add_f32 v6, v107, s[8:9] offset:1288         // 000000006C60: DD348508 00086B06
	global_atomic_add_f32 v6, v111, s[8:9] offset:1544         // 000000006C68: DD348608 00086F06
	global_atomic_add_f32 v6, v115, s[8:9] offset:1800         // 000000006C70: DD348708 00087306
	s_mov_b64 exec, s[36:37]                                   // 000000006C78: BEFE0124
	ds_write_b64 v20, v[116:117]                               // 000000006C7C: D89A0000 00007414
	ds_write_b64 v20, v[120:121] offset:17408                  // 000000006C84: D89A4400 00007814
	ds_write_b64 v20, v[124:125] offset:2176                   // 000000006C8C: D89A0880 00007C14
	ds_write_b64 v20, v[128:129] offset:19584                  // 000000006C94: D89A4C80 00008014
	ds_write_b64 v20, v[132:133] offset:4352                   // 000000006C9C: D89A1100 00008414
	ds_write_b64 v20, v[136:137] offset:21760                  // 000000006CA4: D89A5500 00008814
	ds_write_b64 v20, v[140:141] offset:6528                   // 000000006CAC: D89A1980 00008C14
	ds_write_b64 v20, v[144:145] offset:23936                  // 000000006CB4: D89A5D80 00009014
	ds_write_b64 v20, v[148:149] offset:8704                   // 000000006CBC: D89A2200 00009414
	ds_write_b64 v20, v[152:153] offset:26112                  // 000000006CC4: D89A6600 00009814
	ds_write_b64 v20, v[156:157] offset:10880                  // 000000006CCC: D89A2A80 00009C14
	ds_write_b64 v20, v[160:161] offset:28288                  // 000000006CD4: D89A6E80 0000A014
	ds_write_b64 v20, v[164:165] offset:13056                  // 000000006CDC: D89A3300 0000A414
	ds_write_b64 v20, v[168:169] offset:30464                  // 000000006CE4: D89A7700 0000A814
	ds_write_b64 v20, v[172:173] offset:15232                  // 000000006CEC: D89A3B80 0000AC14
	ds_write_b64 v20, v[176:177] offset:32640                  // 000000006CF4: D89A7F80 0000B014
	s_waitcnt lgkmcnt(0)                                       // 000000006CFC: BF8CC07F
	s_barrier                                                  // 000000006D00: BF8A0000
	ds_read_b32 v116, v21                                      // 000000006D04: D86C0000 74000015
	ds_read_b32 v117, v21 offset:64                            // 000000006D0C: D86C0040 75000015
	ds_read_b32 v120, v21 offset:2176                          // 000000006D14: D86C0880 78000015
	ds_read_b32 v121, v21 offset:2240                          // 000000006D1C: D86C08C0 79000015
	ds_read_b32 v124, v21 offset:4352                          // 000000006D24: D86C1100 7C000015
	ds_read_b32 v125, v21 offset:4416                          // 000000006D2C: D86C1140 7D000015
	ds_read_b32 v128, v21 offset:6528                          // 000000006D34: D86C1980 80000015
	ds_read_b32 v129, v21 offset:6592                          // 000000006D3C: D86C19C0 81000015
	ds_read_b32 v132, v21 offset:8704                          // 000000006D44: D86C2200 84000015
	ds_read_b32 v133, v21 offset:8768                          // 000000006D4C: D86C2240 85000015
	ds_read_b32 v136, v21 offset:10880                         // 000000006D54: D86C2A80 88000015
	ds_read_b32 v137, v21 offset:10944                         // 000000006D5C: D86C2AC0 89000015
	ds_read_b32 v140, v21 offset:13056                         // 000000006D64: D86C3300 8C000015
	ds_read_b32 v141, v21 offset:13120                         // 000000006D6C: D86C3340 8D000015
	ds_read_b32 v144, v21 offset:15232                         // 000000006D74: D86C3B80 90000015
	ds_read_b32 v145, v21 offset:15296                         // 000000006D7C: D86C3BC0 91000015
	ds_read_b32 v148, v21 offset:17408                         // 000000006D84: D86C4400 94000015
	ds_read_b32 v149, v21 offset:17472                         // 000000006D8C: D86C4440 95000015
	ds_read_b32 v152, v21 offset:19584                         // 000000006D94: D86C4C80 98000015
	ds_read_b32 v153, v21 offset:19648                         // 000000006D9C: D86C4CC0 99000015
	ds_read_b32 v156, v21 offset:21760                         // 000000006DA4: D86C5500 9C000015
	ds_read_b32 v157, v21 offset:21824                         // 000000006DAC: D86C5540 9D000015
	ds_read_b32 v160, v21 offset:23936                         // 000000006DB4: D86C5D80 A0000015
	ds_read_b32 v161, v21 offset:24000                         // 000000006DBC: D86C5DC0 A1000015
	ds_read_b32 v164, v21 offset:26112                         // 000000006DC4: D86C6600 A4000015
	ds_read_b32 v165, v21 offset:26176                         // 000000006DCC: D86C6640 A5000015
	ds_read_b32 v168, v21 offset:28288                         // 000000006DD4: D86C6E80 A8000015
	ds_read_b32 v169, v21 offset:28352                         // 000000006DDC: D86C6EC0 A9000015
	ds_read_b32 v172, v21 offset:30464                         // 000000006DE4: D86C7700 AC000015
	ds_read_b32 v173, v21 offset:30528                         // 000000006DEC: D86C7740 AD000015
	ds_read_b32 v176, v21 offset:32640                         // 000000006DF4: D86C7F80 B0000015
	ds_read_b32 v177, v21 offset:32704                         // 000000006DFC: D86C7FC0 B1000015
	s_mul_i32 s60, s65, 4                                      // 000000006E04: 923C8441
	s_add_u32 s8, s60, s8                                      // 000000006E08: 8008083C
	s_addc_u32 s9, 0, s9                                       // 000000006E0C: 82090980
	s_waitcnt lgkmcnt(0)                                       // 000000006E10: BF8CC07F
	v_mov_b32_e32 v7, 0                                        // 000000006E14: 7E0E0280
	s_mov_b64 exec, s[36:37]                                   // 000000006E18: BEFE0124
	v_mov_b32_e32 v6, v37                                      // 000000006E1C: 7E0C0325
	s_mov_b64 s[60:61], 0                                      // 000000006E20: BEBC0180
	v_readlane_b32 s82, v3, 0                                  // 000000006E24: D2890052 00010103
	s_and_b32 s82, s82, 0xffffff                               // 000000006E2C: 8652FF52 00FFFFFF
	s_cmp_lt_u32 s82, s66                                      // 000000006E34: BF0A4252
	s_cselect_b32 s20, s36, s60                                // 000000006E38: 85143C24
	v_readlane_b32 s82, v3, 1                                  // 000000006E3C: D2890052 00010303
	s_and_b32 s82, s82, 0xffffff                               // 000000006E44: 8652FF52 00FFFFFF
	s_cmp_lt_u32 s82, s66                                      // 000000006E4C: BF0A4252
	s_cselect_b32 s21, s36, s60                                // 000000006E50: 85153C24
	s_mov_b64 exec, s[20:21]                                   // 000000006E54: BEFE0114
	global_atomic_add_f32 v6, v116, s[8:9]                     // 000000006E58: DD348000 00087406
	global_atomic_add_f32 v6, v120, s[8:9] offset:256          // 000000006E60: DD348100 00087806
	global_atomic_add_f32 v6, v124, s[8:9] offset:512          // 000000006E68: DD348200 00087C06
	global_atomic_add_f32 v6, v128, s[8:9] offset:768          // 000000006E70: DD348300 00088006
	global_atomic_add_f32 v6, v132, s[8:9] offset:1024         // 000000006E78: DD348400 00088406
	global_atomic_add_f32 v6, v136, s[8:9] offset:1280         // 000000006E80: DD348500 00088806
	global_atomic_add_f32 v6, v140, s[8:9] offset:1536         // 000000006E88: DD348600 00088C06
	global_atomic_add_f32 v6, v144, s[8:9] offset:1792         // 000000006E90: DD348700 00089006
	s_mov_b64 exec, s[36:37]                                   // 000000006E98: BEFE0124
	v_mov_b32_e32 v6, v38                                      // 000000006E9C: 7E0C0326
	s_mov_b64 s[60:61], 0                                      // 000000006EA0: BEBC0180
	v_readlane_b32 s82, v3, 2                                  // 000000006EA4: D2890052 00010503
	s_and_b32 s82, s82, 0xffffff                               // 000000006EAC: 8652FF52 00FFFFFF
	s_cmp_lt_u32 s82, s66                                      // 000000006EB4: BF0A4252
	s_cselect_b32 s20, s36, s60                                // 000000006EB8: 85143C24
	v_readlane_b32 s82, v3, 3                                  // 000000006EBC: D2890052 00010703
	s_and_b32 s82, s82, 0xffffff                               // 000000006EC4: 8652FF52 00FFFFFF
	s_cmp_lt_u32 s82, s66                                      // 000000006ECC: BF0A4252
	s_cselect_b32 s21, s36, s60                                // 000000006ED0: 85153C24
	s_mov_b64 exec, s[20:21]                                   // 000000006ED4: BEFE0114
	global_atomic_add_f32 v6, v117, s[8:9]                     // 000000006ED8: DD348000 00087506
	global_atomic_add_f32 v6, v121, s[8:9] offset:256          // 000000006EE0: DD348100 00087906
	global_atomic_add_f32 v6, v125, s[8:9] offset:512          // 000000006EE8: DD348200 00087D06
	global_atomic_add_f32 v6, v129, s[8:9] offset:768          // 000000006EF0: DD348300 00088106
	global_atomic_add_f32 v6, v133, s[8:9] offset:1024         // 000000006EF8: DD348400 00088506
	global_atomic_add_f32 v6, v137, s[8:9] offset:1280         // 000000006F00: DD348500 00088906
	global_atomic_add_f32 v6, v141, s[8:9] offset:1536         // 000000006F08: DD348600 00088D06
	global_atomic_add_f32 v6, v145, s[8:9] offset:1792         // 000000006F10: DD348700 00089106
	s_mov_b64 exec, s[36:37]                                   // 000000006F18: BEFE0124
	v_mov_b32_e32 v6, v39                                      // 000000006F1C: 7E0C0327
	s_mov_b64 s[60:61], 0                                      // 000000006F20: BEBC0180
	v_readlane_b32 s82, v3, 4                                  // 000000006F24: D2890052 00010903
	s_and_b32 s82, s82, 0xffffff                               // 000000006F2C: 8652FF52 00FFFFFF
	s_cmp_lt_u32 s82, s66                                      // 000000006F34: BF0A4252
	s_cselect_b32 s20, s36, s60                                // 000000006F38: 85143C24
	v_readlane_b32 s82, v3, 5                                  // 000000006F3C: D2890052 00010B03
	s_and_b32 s82, s82, 0xffffff                               // 000000006F44: 8652FF52 00FFFFFF
	s_cmp_lt_u32 s82, s66                                      // 000000006F4C: BF0A4252
	s_cselect_b32 s21, s36, s60                                // 000000006F50: 85153C24
	s_mov_b64 exec, s[20:21]                                   // 000000006F54: BEFE0114
	global_atomic_add_f32 v6, v148, s[8:9]                     // 000000006F58: DD348000 00089406
	global_atomic_add_f32 v6, v152, s[8:9] offset:256          // 000000006F60: DD348100 00089806
	global_atomic_add_f32 v6, v156, s[8:9] offset:512          // 000000006F68: DD348200 00089C06
	global_atomic_add_f32 v6, v160, s[8:9] offset:768          // 000000006F70: DD348300 0008A006
	global_atomic_add_f32 v6, v164, s[8:9] offset:1024         // 000000006F78: DD348400 0008A406
	global_atomic_add_f32 v6, v168, s[8:9] offset:1280         // 000000006F80: DD348500 0008A806
	global_atomic_add_f32 v6, v172, s[8:9] offset:1536         // 000000006F88: DD348600 0008AC06
	global_atomic_add_f32 v6, v176, s[8:9] offset:1792         // 000000006F90: DD348700 0008B006
	s_mov_b64 exec, s[36:37]                                   // 000000006F98: BEFE0124
	v_mov_b32_e32 v6, v40                                      // 000000006F9C: 7E0C0328
	s_mov_b64 s[60:61], 0                                      // 000000006FA0: BEBC0180
	v_readlane_b32 s82, v3, 6                                  // 000000006FA4: D2890052 00010D03
	s_and_b32 s82, s82, 0xffffff                               // 000000006FAC: 8652FF52 00FFFFFF
	s_cmp_lt_u32 s82, s66                                      // 000000006FB4: BF0A4252
	s_cselect_b32 s20, s36, s60                                // 000000006FB8: 85143C24
	v_readlane_b32 s82, v3, 7                                  // 000000006FBC: D2890052 00010F03
	s_and_b32 s82, s82, 0xffffff                               // 000000006FC4: 8652FF52 00FFFFFF
	s_cmp_lt_u32 s82, s66                                      // 000000006FCC: BF0A4252
	s_cselect_b32 s21, s36, s60                                // 000000006FD0: 85153C24
	s_mov_b64 exec, s[20:21]                                   // 000000006FD4: BEFE0114
	global_atomic_add_f32 v6, v149, s[8:9]                     // 000000006FD8: DD348000 00089506
	global_atomic_add_f32 v6, v153, s[8:9] offset:256          // 000000006FE0: DD348100 00089906
	global_atomic_add_f32 v6, v157, s[8:9] offset:512          // 000000006FE8: DD348200 00089D06
	global_atomic_add_f32 v6, v161, s[8:9] offset:768          // 000000006FF0: DD348300 0008A106
	global_atomic_add_f32 v6, v165, s[8:9] offset:1024         // 000000006FF8: DD348400 0008A506
	global_atomic_add_f32 v6, v169, s[8:9] offset:1280         // 000000007000: DD348500 0008A906
	global_atomic_add_f32 v6, v173, s[8:9] offset:1536         // 000000007008: DD348600 0008AD06
	global_atomic_add_f32 v6, v177, s[8:9] offset:1792         // 000000007010: DD348700 0008B106
	s_mov_b64 exec, s[36:37]                                   // 000000007018: BEFE0124
	ds_write_b64 v20, v[118:119]                               // 00000000701C: D89A0000 00007614
	ds_write_b64 v20, v[122:123] offset:17408                  // 000000007024: D89A4400 00007A14
	ds_write_b64 v20, v[126:127] offset:2176                   // 00000000702C: D89A0880 00007E14
	ds_write_b64 v20, v[130:131] offset:19584                  // 000000007034: D89A4C80 00008214
	ds_write_b64 v20, v[134:135] offset:4352                   // 00000000703C: D89A1100 00008614
	ds_write_b64 v20, v[138:139] offset:21760                  // 000000007044: D89A5500 00008A14
	ds_write_b64 v20, v[142:143] offset:6528                   // 00000000704C: D89A1980 00008E14
	ds_write_b64 v20, v[146:147] offset:23936                  // 000000007054: D89A5D80 00009214
	ds_write_b64 v20, v[150:151] offset:8704                   // 00000000705C: D89A2200 00009614
	ds_write_b64 v20, v[154:155] offset:26112                  // 000000007064: D89A6600 00009A14
	ds_write_b64 v20, v[158:159] offset:10880                  // 00000000706C: D89A2A80 00009E14
	ds_write_b64 v20, v[162:163] offset:28288                  // 000000007074: D89A6E80 0000A214
	ds_write_b64 v20, v[166:167] offset:13056                  // 00000000707C: D89A3300 0000A614
	ds_write_b64 v20, v[170:171] offset:30464                  // 000000007084: D89A7700 0000AA14
	ds_write_b64 v20, v[174:175] offset:15232                  // 00000000708C: D89A3B80 0000AE14
	ds_write_b64 v20, v[178:179] offset:32640                  // 000000007094: D89A7F80 0000B214
	s_waitcnt lgkmcnt(0)                                       // 00000000709C: BF8CC07F
	s_barrier                                                  // 0000000070A0: BF8A0000
	ds_read_b32 v118, v21                                      // 0000000070A4: D86C0000 76000015
	ds_read_b32 v119, v21 offset:64                            // 0000000070AC: D86C0040 77000015
	ds_read_b32 v122, v21 offset:2176                          // 0000000070B4: D86C0880 7A000015
	ds_read_b32 v123, v21 offset:2240                          // 0000000070BC: D86C08C0 7B000015
	ds_read_b32 v126, v21 offset:4352                          // 0000000070C4: D86C1100 7E000015
	ds_read_b32 v127, v21 offset:4416                          // 0000000070CC: D86C1140 7F000015
	ds_read_b32 v130, v21 offset:6528                          // 0000000070D4: D86C1980 82000015
	ds_read_b32 v131, v21 offset:6592                          // 0000000070DC: D86C19C0 83000015
	ds_read_b32 v134, v21 offset:8704                          // 0000000070E4: D86C2200 86000015
	ds_read_b32 v135, v21 offset:8768                          // 0000000070EC: D86C2240 87000015
	ds_read_b32 v138, v21 offset:10880                         // 0000000070F4: D86C2A80 8A000015
	ds_read_b32 v139, v21 offset:10944                         // 0000000070FC: D86C2AC0 8B000015
	ds_read_b32 v142, v21 offset:13056                         // 000000007104: D86C3300 8E000015
	ds_read_b32 v143, v21 offset:13120                         // 00000000710C: D86C3340 8F000015
	ds_read_b32 v146, v21 offset:15232                         // 000000007114: D86C3B80 92000015
	ds_read_b32 v147, v21 offset:15296                         // 00000000711C: D86C3BC0 93000015
	ds_read_b32 v150, v21 offset:17408                         // 000000007124: D86C4400 96000015
	ds_read_b32 v151, v21 offset:17472                         // 00000000712C: D86C4440 97000015
	ds_read_b32 v154, v21 offset:19584                         // 000000007134: D86C4C80 9A000015
	ds_read_b32 v155, v21 offset:19648                         // 00000000713C: D86C4CC0 9B000015
	ds_read_b32 v158, v21 offset:21760                         // 000000007144: D86C5500 9E000015
	ds_read_b32 v159, v21 offset:21824                         // 00000000714C: D86C5540 9F000015
	ds_read_b32 v162, v21 offset:23936                         // 000000007154: D86C5D80 A2000015
	ds_read_b32 v163, v21 offset:24000                         // 00000000715C: D86C5DC0 A3000015
	ds_read_b32 v166, v21 offset:26112                         // 000000007164: D86C6600 A6000015
	ds_read_b32 v167, v21 offset:26176                         // 00000000716C: D86C6640 A7000015
	ds_read_b32 v170, v21 offset:28288                         // 000000007174: D86C6E80 AA000015
	ds_read_b32 v171, v21 offset:28352                         // 00000000717C: D86C6EC0 AB000015
	ds_read_b32 v174, v21 offset:30464                         // 000000007184: D86C7700 AE000015
	ds_read_b32 v175, v21 offset:30528                         // 00000000718C: D86C7740 AF000015
	ds_read_b32 v178, v21 offset:32640                         // 000000007194: D86C7F80 B2000015
	ds_read_b32 v179, v21 offset:32704                         // 00000000719C: D86C7FC0 B3000015
	s_waitcnt lgkmcnt(0)                                       // 0000000071A4: BF8CC07F
	v_mov_b32_e32 v7, 0                                        // 0000000071A8: 7E0E0280
	s_mov_b64 exec, s[36:37]                                   // 0000000071AC: BEFE0124
	v_mov_b32_e32 v6, v37                                      // 0000000071B0: 7E0C0325
	s_mov_b64 s[60:61], 0                                      // 0000000071B4: BEBC0180
	v_readlane_b32 s82, v3, 0                                  // 0000000071B8: D2890052 00010103
	s_and_b32 s82, s82, 0xffffff                               // 0000000071C0: 8652FF52 00FFFFFF
	s_cmp_lt_u32 s82, s66                                      // 0000000071C8: BF0A4252
	s_cselect_b32 s20, s36, s60                                // 0000000071CC: 85143C24
	v_readlane_b32 s82, v3, 1                                  // 0000000071D0: D2890052 00010303
	s_and_b32 s82, s82, 0xffffff                               // 0000000071D8: 8652FF52 00FFFFFF
	s_cmp_lt_u32 s82, s66                                      // 0000000071E0: BF0A4252
	s_cselect_b32 s21, s36, s60                                // 0000000071E4: 85153C24
	s_mov_b64 exec, s[20:21]                                   // 0000000071E8: BEFE0114
	global_atomic_add_f32 v6, v118, s[8:9] offset:8            // 0000000071EC: DD348008 00087606
	global_atomic_add_f32 v6, v122, s[8:9] offset:264          // 0000000071F4: DD348108 00087A06
	global_atomic_add_f32 v6, v126, s[8:9] offset:520          // 0000000071FC: DD348208 00087E06
	global_atomic_add_f32 v6, v130, s[8:9] offset:776          // 000000007204: DD348308 00088206
	global_atomic_add_f32 v6, v134, s[8:9] offset:1032         // 00000000720C: DD348408 00088606
	global_atomic_add_f32 v6, v138, s[8:9] offset:1288         // 000000007214: DD348508 00088A06
	global_atomic_add_f32 v6, v142, s[8:9] offset:1544         // 00000000721C: DD348608 00088E06
	global_atomic_add_f32 v6, v146, s[8:9] offset:1800         // 000000007224: DD348708 00089206
	s_mov_b64 exec, s[36:37]                                   // 00000000722C: BEFE0124
	v_mov_b32_e32 v6, v38                                      // 000000007230: 7E0C0326
	s_mov_b64 s[60:61], 0                                      // 000000007234: BEBC0180
	v_readlane_b32 s82, v3, 2                                  // 000000007238: D2890052 00010503
	s_and_b32 s82, s82, 0xffffff                               // 000000007240: 8652FF52 00FFFFFF
	s_cmp_lt_u32 s82, s66                                      // 000000007248: BF0A4252
	s_cselect_b32 s20, s36, s60                                // 00000000724C: 85143C24
	v_readlane_b32 s82, v3, 3                                  // 000000007250: D2890052 00010703
	s_and_b32 s82, s82, 0xffffff                               // 000000007258: 8652FF52 00FFFFFF
	s_cmp_lt_u32 s82, s66                                      // 000000007260: BF0A4252
	s_cselect_b32 s21, s36, s60                                // 000000007264: 85153C24
	s_mov_b64 exec, s[20:21]                                   // 000000007268: BEFE0114
	global_atomic_add_f32 v6, v119, s[8:9] offset:8            // 00000000726C: DD348008 00087706
	global_atomic_add_f32 v6, v123, s[8:9] offset:264          // 000000007274: DD348108 00087B06
	global_atomic_add_f32 v6, v127, s[8:9] offset:520          // 00000000727C: DD348208 00087F06
	global_atomic_add_f32 v6, v131, s[8:9] offset:776          // 000000007284: DD348308 00088306
	global_atomic_add_f32 v6, v135, s[8:9] offset:1032         // 00000000728C: DD348408 00088706
	global_atomic_add_f32 v6, v139, s[8:9] offset:1288         // 000000007294: DD348508 00088B06
	global_atomic_add_f32 v6, v143, s[8:9] offset:1544         // 00000000729C: DD348608 00088F06
	global_atomic_add_f32 v6, v147, s[8:9] offset:1800         // 0000000072A4: DD348708 00089306
	s_mov_b64 exec, s[36:37]                                   // 0000000072AC: BEFE0124
	v_mov_b32_e32 v6, v39                                      // 0000000072B0: 7E0C0327
	s_mov_b64 s[60:61], 0                                      // 0000000072B4: BEBC0180
	v_readlane_b32 s82, v3, 4                                  // 0000000072B8: D2890052 00010903
	s_and_b32 s82, s82, 0xffffff                               // 0000000072C0: 8652FF52 00FFFFFF
	s_cmp_lt_u32 s82, s66                                      // 0000000072C8: BF0A4252
	s_cselect_b32 s20, s36, s60                                // 0000000072CC: 85143C24
	v_readlane_b32 s82, v3, 5                                  // 0000000072D0: D2890052 00010B03
	s_and_b32 s82, s82, 0xffffff                               // 0000000072D8: 8652FF52 00FFFFFF
	s_cmp_lt_u32 s82, s66                                      // 0000000072E0: BF0A4252
	s_cselect_b32 s21, s36, s60                                // 0000000072E4: 85153C24
	s_mov_b64 exec, s[20:21]                                   // 0000000072E8: BEFE0114
	global_atomic_add_f32 v6, v150, s[8:9] offset:8            // 0000000072EC: DD348008 00089606
	global_atomic_add_f32 v6, v154, s[8:9] offset:264          // 0000000072F4: DD348108 00089A06
	global_atomic_add_f32 v6, v158, s[8:9] offset:520          // 0000000072FC: DD348208 00089E06
	global_atomic_add_f32 v6, v162, s[8:9] offset:776          // 000000007304: DD348308 0008A206
	global_atomic_add_f32 v6, v166, s[8:9] offset:1032         // 00000000730C: DD348408 0008A606
	global_atomic_add_f32 v6, v170, s[8:9] offset:1288         // 000000007314: DD348508 0008AA06
	global_atomic_add_f32 v6, v174, s[8:9] offset:1544         // 00000000731C: DD348608 0008AE06
	global_atomic_add_f32 v6, v178, s[8:9] offset:1800         // 000000007324: DD348708 0008B206
	s_mov_b64 exec, s[36:37]                                   // 00000000732C: BEFE0124
	v_mov_b32_e32 v6, v40                                      // 000000007330: 7E0C0328
	s_mov_b64 s[60:61], 0                                      // 000000007334: BEBC0180
	v_readlane_b32 s82, v3, 6                                  // 000000007338: D2890052 00010D03
	s_and_b32 s82, s82, 0xffffff                               // 000000007340: 8652FF52 00FFFFFF
	s_cmp_lt_u32 s82, s66                                      // 000000007348: BF0A4252
	s_cselect_b32 s20, s36, s60                                // 00000000734C: 85143C24
	v_readlane_b32 s82, v3, 7                                  // 000000007350: D2890052 00010F03
	s_and_b32 s82, s82, 0xffffff                               // 000000007358: 8652FF52 00FFFFFF
	s_cmp_lt_u32 s82, s66                                      // 000000007360: BF0A4252
	s_cselect_b32 s21, s36, s60                                // 000000007364: 85153C24
	s_mov_b64 exec, s[20:21]                                   // 000000007368: BEFE0114
	global_atomic_add_f32 v6, v151, s[8:9] offset:8            // 00000000736C: DD348008 00089706
	global_atomic_add_f32 v6, v155, s[8:9] offset:264          // 000000007374: DD348108 00089B06
	global_atomic_add_f32 v6, v159, s[8:9] offset:520          // 00000000737C: DD348208 00089F06
	global_atomic_add_f32 v6, v163, s[8:9] offset:776          // 000000007384: DD348308 0008A306
	global_atomic_add_f32 v6, v167, s[8:9] offset:1032         // 00000000738C: DD348408 0008A706
	global_atomic_add_f32 v6, v171, s[8:9] offset:1288         // 000000007394: DD348508 0008AB06
	global_atomic_add_f32 v6, v175, s[8:9] offset:1544         // 00000000739C: DD348608 0008AF06
	global_atomic_add_f32 v6, v179, s[8:9] offset:1800         // 0000000073A4: DD348708 0008B306
	s_mov_b64 exec, s[36:37]                                   // 0000000073AC: BEFE0124
	s_branch label_2280                                        // 0000000073B0: BF821010

00000000000073b4 <label_1270>:
	s_waitcnt vmcnt(14) lgkmcnt(0)                             // 0000000073B4: BF8C007E
	s_barrier                                                  // 0000000073B8: BF8A0000
	v_mfma_f32_16x16x32_fp8_fp8 v[52:55], a[32:33], a[0:1], v[52:55]// 0000000073BC: D3F30034 1CD20120
	buffer_load_dwordx4 a[96:99], v41, s[84:87], 0 offen       // 0000000073C4: E05C1000 80956029
	v_mfma_f32_16x16x32_fp8_fp8 v[52:55], a[34:35], a[2:3], v[52:55]// 0000000073CC: D3F30034 1CD20522
	v_mfma_f32_16x16x32_fp8_fp8 v[52:55], a[36:37], a[4:5], v[52:55]// 0000000073D4: D3F30034 1CD20924
	v_mfma_f32_16x16x32_fp8_fp8 v[52:55], a[38:39], a[6:7], v[52:55]// 0000000073DC: D3F30034 1CD20D26
	v_mfma_f32_16x16x32_fp8_fp8 v[56:59], a[32:33], a[8:9], v[56:59]// 0000000073E4: D3F30038 1CE21120
	buffer_load_dwordx4 a[100:103], v41, s[84:87], 0 offen offset:1024// 0000000073EC: E05C1400 80956429
	v_mfma_f32_16x16x32_fp8_fp8 v[56:59], a[34:35], a[10:11], v[56:59]// 0000000073F4: D3F30038 1CE21522
	v_mfma_f32_16x16x32_fp8_fp8 v[56:59], a[36:37], a[12:13], v[56:59]// 0000000073FC: D3F30038 1CE21924
	v_mfma_f32_16x16x32_fp8_fp8 v[56:59], a[38:39], a[14:15], v[56:59]// 000000007404: D3F30038 1CE21D26
	s_waitcnt vmcnt(14)                                        // 00000000740C: BF8C0F7E
	v_mfma_f32_16x16x32_fp8_fp8 v[60:63], a[40:41], a[0:1], v[60:63]// 000000007410: D3F3003C 1CF20128
	buffer_load_dwordx4 a[104:107], v42, s[84:87], 0 offen     // 000000007418: E05C1000 8095682A
	v_mfma_f32_16x16x32_fp8_fp8 v[60:63], a[42:43], a[2:3], v[60:63]// 000000007420: D3F3003C 1CF2052A
	v_mfma_f32_16x16x32_fp8_fp8 v[60:63], a[44:45], a[4:5], v[60:63]// 000000007428: D3F3003C 1CF2092C
	v_mfma_f32_16x16x32_fp8_fp8 v[60:63], a[46:47], a[6:7], v[60:63]// 000000007430: D3F3003C 1CF20D2E
	v_mfma_f32_16x16x32_fp8_fp8 v[64:67], a[40:41], a[8:9], v[64:67]// 000000007438: D3F30040 1D021128
	buffer_load_dwordx4 a[108:111], v42, s[84:87], 0 offen offset:1024// 000000007440: E05C1400 80956C2A
	v_mfma_f32_16x16x32_fp8_fp8 v[64:67], a[42:43], a[10:11], v[64:67]// 000000007448: D3F30040 1D02152A
	v_mfma_f32_16x16x32_fp8_fp8 v[64:67], a[44:45], a[12:13], v[64:67]// 000000007450: D3F30040 1D02192C
	v_mfma_f32_16x16x32_fp8_fp8 v[64:67], a[46:47], a[14:15], v[64:67]// 000000007458: D3F30040 1D021D2E
	s_waitcnt vmcnt(14)                                        // 000000007460: BF8C0F7E
	v_mfma_f32_16x16x32_fp8_fp8 v[68:71], a[48:49], a[0:1], v[68:71]// 000000007464: D3F30044 1D120130
	buffer_load_dwordx4 a[112:115], v43, s[84:87], 0 offen     // 00000000746C: E05C1000 8095702B
	v_mfma_f32_16x16x32_fp8_fp8 v[68:71], a[50:51], a[2:3], v[68:71]// 000000007474: D3F30044 1D120532
	v_mfma_f32_16x16x32_fp8_fp8 v[68:71], a[52:53], a[4:5], v[68:71]// 00000000747C: D3F30044 1D120934
	v_mfma_f32_16x16x32_fp8_fp8 v[68:71], a[54:55], a[6:7], v[68:71]// 000000007484: D3F30044 1D120D36
	v_mfma_f32_16x16x32_fp8_fp8 v[72:75], a[48:49], a[8:9], v[72:75]// 00000000748C: D3F30048 1D221130
	buffer_load_dwordx4 a[116:119], v43, s[84:87], 0 offen offset:1024// 000000007494: E05C1400 8095742B
	v_mfma_f32_16x16x32_fp8_fp8 v[72:75], a[50:51], a[10:11], v[72:75]// 00000000749C: D3F30048 1D221532
	v_mfma_f32_16x16x32_fp8_fp8 v[72:75], a[52:53], a[12:13], v[72:75]// 0000000074A4: D3F30048 1D221934
	v_mfma_f32_16x16x32_fp8_fp8 v[72:75], a[54:55], a[14:15], v[72:75]// 0000000074AC: D3F30048 1D221D36
	s_waitcnt vmcnt(14)                                        // 0000000074B4: BF8C0F7E
	v_mfma_f32_16x16x32_fp8_fp8 v[76:79], a[56:57], a[0:1], v[76:79]// 0000000074B8: D3F3004C 1D320138
	buffer_load_dwordx4 a[120:123], v44, s[84:87], 0 offen     // 0000000074C0: E05C1000 8095782C
	v_mfma_f32_16x16x32_fp8_fp8 v[76:79], a[58:59], a[2:3], v[76:79]// 0000000074C8: D3F3004C 1D32053A
	v_mfma_f32_16x16x32_fp8_fp8 v[76:79], a[60:61], a[4:5], v[76:79]// 0000000074D0: D3F3004C 1D32093C
	v_mfma_f32_16x16x32_fp8_fp8 v[76:79], a[62:63], a[6:7], v[76:79]// 0000000074D8: D3F3004C 1D320D3E
	v_mfma_f32_16x16x32_fp8_fp8 v[80:83], a[56:57], a[8:9], v[80:83]// 0000000074E0: D3F30050 1D421138
	buffer_load_dwordx4 a[124:127], v44, s[84:87], 0 offen offset:1024// 0000000074E8: E05C1400 80957C2C
	v_mfma_f32_16x16x32_fp8_fp8 v[80:83], a[58:59], a[10:11], v[80:83]// 0000000074F0: D3F30050 1D42153A
	v_mfma_f32_16x16x32_fp8_fp8 v[80:83], a[60:61], a[12:13], v[80:83]// 0000000074F8: D3F30050 1D42193C
	v_mfma_f32_16x16x32_fp8_fp8 v[80:83], a[62:63], a[14:15], v[80:83]// 000000007500: D3F30050 1D421D3E
	s_waitcnt vmcnt(14)                                        // 000000007508: BF8C0F7E
	v_mfma_f32_16x16x32_fp8_fp8 v[84:87], a[64:65], a[0:1], v[84:87]// 00000000750C: D3F30054 1D520140
	buffer_load_dwordx4 a[128:131], v45, s[84:87], 0 offen     // 000000007514: E05C1000 8095802D
	v_mfma_f32_16x16x32_fp8_fp8 v[84:87], a[66:67], a[2:3], v[84:87]// 00000000751C: D3F30054 1D520542
	v_mfma_f32_16x16x32_fp8_fp8 v[84:87], a[68:69], a[4:5], v[84:87]// 000000007524: D3F30054 1D520944
	v_mfma_f32_16x16x32_fp8_fp8 v[84:87], a[70:71], a[6:7], v[84:87]// 00000000752C: D3F30054 1D520D46
	v_mfma_f32_16x16x32_fp8_fp8 v[88:91], a[64:65], a[8:9], v[88:91]// 000000007534: D3F30058 1D621140
	buffer_load_dwordx4 a[132:135], v45, s[84:87], 0 offen offset:1024// 00000000753C: E05C1400 8095842D
	v_mfma_f32_16x16x32_fp8_fp8 v[88:91], a[66:67], a[10:11], v[88:91]// 000000007544: D3F30058 1D621542
	v_mfma_f32_16x16x32_fp8_fp8 v[88:91], a[68:69], a[12:13], v[88:91]// 00000000754C: D3F30058 1D621944
	v_mfma_f32_16x16x32_fp8_fp8 v[88:91], a[70:71], a[14:15], v[88:91]// 000000007554: D3F30058 1D621D46
	s_waitcnt vmcnt(14)                                        // 00000000755C: BF8C0F7E
	v_mfma_f32_16x16x32_fp8_fp8 v[92:95], a[72:73], a[0:1], v[92:95]// 000000007560: D3F3005C 1D720148
	buffer_load_dwordx4 a[136:139], v46, s[84:87], 0 offen     // 000000007568: E05C1000 8095882E
	v_mfma_f32_16x16x32_fp8_fp8 v[92:95], a[74:75], a[2:3], v[92:95]// 000000007570: D3F3005C 1D72054A
	v_mfma_f32_16x16x32_fp8_fp8 v[92:95], a[76:77], a[4:5], v[92:95]// 000000007578: D3F3005C 1D72094C
	v_mfma_f32_16x16x32_fp8_fp8 v[92:95], a[78:79], a[6:7], v[92:95]// 000000007580: D3F3005C 1D720D4E
	v_mfma_f32_16x16x32_fp8_fp8 v[96:99], a[72:73], a[8:9], v[96:99]// 000000007588: D3F30060 1D821148
	buffer_load_dwordx4 a[140:143], v46, s[84:87], 0 offen offset:1024// 000000007590: E05C1400 80958C2E
	v_mfma_f32_16x16x32_fp8_fp8 v[96:99], a[74:75], a[10:11], v[96:99]// 000000007598: D3F30060 1D82154A
	v_mfma_f32_16x16x32_fp8_fp8 v[96:99], a[76:77], a[12:13], v[96:99]// 0000000075A0: D3F30060 1D82194C
	v_mfma_f32_16x16x32_fp8_fp8 v[96:99], a[78:79], a[14:15], v[96:99]// 0000000075A8: D3F30060 1D821D4E
	s_waitcnt vmcnt(14)                                        // 0000000075B0: BF8C0F7E
	v_mfma_f32_16x16x32_fp8_fp8 v[100:103], a[80:81], a[0:1], v[100:103]// 0000000075B4: D3F30064 1D920150
	buffer_load_dwordx4 a[144:147], v47, s[84:87], 0 offen     // 0000000075BC: E05C1000 8095902F
	v_mfma_f32_16x16x32_fp8_fp8 v[100:103], a[82:83], a[2:3], v[100:103]// 0000000075C4: D3F30064 1D920552
	v_mfma_f32_16x16x32_fp8_fp8 v[100:103], a[84:85], a[4:5], v[100:103]// 0000000075CC: D3F30064 1D920954
	v_mfma_f32_16x16x32_fp8_fp8 v[100:103], a[86:87], a[6:7], v[100:103]// 0000000075D4: D3F30064 1D920D56
	v_mfma_f32_16x16x32_fp8_fp8 v[104:107], a[80:81], a[8:9], v[104:107]// 0000000075DC: D3F30068 1DA21150
	buffer_load_dwordx4 a[148:151], v47, s[84:87], 0 offen offset:1024// 0000000075E4: E05C1400 8095942F
	v_mfma_f32_16x16x32_fp8_fp8 v[104:107], a[82:83], a[10:11], v[104:107]// 0000000075EC: D3F30068 1DA21552
	v_mfma_f32_16x16x32_fp8_fp8 v[104:107], a[84:85], a[12:13], v[104:107]// 0000000075F4: D3F30068 1DA21954
	v_mfma_f32_16x16x32_fp8_fp8 v[104:107], a[86:87], a[14:15], v[104:107]// 0000000075FC: D3F30068 1DA21D56
	s_waitcnt vmcnt(14)                                        // 000000007604: BF8C0F7E
	v_mfma_f32_16x16x32_fp8_fp8 v[108:111], a[88:89], a[0:1], v[108:111]// 000000007608: D3F3006C 1DB20158
	buffer_load_dwordx4 a[152:155], v48, s[84:87], 0 offen     // 000000007610: E05C1000 80959830
	v_mfma_f32_16x16x32_fp8_fp8 v[108:111], a[90:91], a[2:3], v[108:111]// 000000007618: D3F3006C 1DB2055A
	v_mfma_f32_16x16x32_fp8_fp8 v[108:111], a[92:93], a[4:5], v[108:111]// 000000007620: D3F3006C 1DB2095C
	v_mfma_f32_16x16x32_fp8_fp8 v[108:111], a[94:95], a[6:7], v[108:111]// 000000007628: D3F3006C 1DB20D5E
	v_mfma_f32_16x16x32_fp8_fp8 v[112:115], a[88:89], a[8:9], v[112:115]// 000000007630: D3F30070 1DC21158
	buffer_load_dwordx4 a[156:159], v48, s[84:87], 0 offen offset:1024// 000000007638: E05C1400 80959C30
	buffer_load_dword v37, s[20:23], 0 offen lds               // 000000007640: E0511000 80050025
	s_add_u32 m0, 0x100, s48                                   // 000000007648: 807C30FF 00000100
	v_mfma_f32_16x16x32_fp8_fp8 v[112:115], a[90:91], a[10:11], v[112:115]// 000000007650: D3F30070 1DC2155A
	s_add_u32 s60, 0x80, s80                                   // 000000007658: 803C50FF 00000080
	s_cmp_lt_u32 s60, s81                                      // 000000007660: BF0A513C
	s_cselect_b32 s83, s83, 0                                  // 000000007664: 85538053
	v_mfma_f32_16x16x32_fp8_fp8 v[112:115], a[92:93], a[12:13], v[112:115]// 000000007668: D3F30070 1DC2195C
	buffer_load_dword v38, s[20:23], 0 offen lds               // 000000007670: E0511000 80050026
	s_add_u32 m0, 0x200, s48                                   // 000000007678: 807C30FF 00000200
	v_mfma_f32_16x16x32_fp8_fp8 v[112:115], a[94:95], a[14:15], v[112:115]// 000000007680: D3F30070 1DC21D5E
	buffer_load_dword v39, s[20:23], 0 offen lds               // 000000007688: E0511000 80050027
	s_add_u32 m0, 0x300, s48                                   // 000000007690: 807C30FF 00000300
	buffer_load_dword v40, s[20:23], 0 offen lds               // 000000007698: E0511000 80050028
	s_add_u32 m0, 0, s49                                       // 0000000076A0: 807C3180
	s_waitcnt vmcnt(4)                                         // 0000000076A4: BF8C0F74
	v_mfma_f32_16x16x32_fp8_fp8 v[116:119], a[96:97], a[0:1], v[116:119]// 0000000076A8: D3F30074 1DD20160
	buffer_load_dwordx4 a[32:35], v41, s[24:27], 0 offen       // 0000000076B0: E05C1000 80862029
	v_mfma_f32_16x16x32_fp8_fp8 v[116:119], a[98:99], a[2:3], v[116:119]// 0000000076B8: D3F30074 1DD20562
	v_mfma_f32_16x16x32_fp8_fp8 v[116:119], a[100:101], a[4:5], v[116:119]// 0000000076C0: D3F30074 1DD20964
	ds_read_b128 a[16:19], v2 offset:4224                      // 0000000076C8: DBFE1080 10000002
	ds_read_b128 a[20:23], v2 offset:4288                      // 0000000076D0: DBFE10C0 14000002
	v_mfma_f32_16x16x32_fp8_fp8 v[116:119], a[102:103], a[6:7], v[116:119]// 0000000076D8: D3F30074 1DD20D66
	v_mfma_f32_16x16x32_fp8_fp8 v[124:127], a[104:105], a[0:1], v[124:127]// 0000000076E0: D3F3007C 1DF20168
	buffer_load_dwordx4 a[36:39], v41, s[24:27], 0 offen offset:1024// 0000000076E8: E05C1400 80862429
	v_mfma_f32_16x16x32_fp8_fp8 v[124:127], a[106:107], a[2:3], v[124:127]// 0000000076F0: D3F3007C 1DF2056A
	v_mfma_f32_16x16x32_fp8_fp8 v[124:127], a[108:109], a[4:5], v[124:127]// 0000000076F8: D3F3007C 1DF2096C
	ds_read_b128 a[24:27], v2 offset:4736                      // 000000007700: DBFE1280 18000002
	ds_read_b128 a[28:31], v2 offset:4800                      // 000000007708: DBFE12C0 1C000002
	v_mfma_f32_16x16x32_fp8_fp8 v[124:127], a[110:111], a[6:7], v[124:127]// 000000007710: D3F3007C 1DF20D6E
	v_mfma_f32_16x16x32_fp8_fp8 v[132:135], a[112:113], a[0:1], v[132:135]// 000000007718: D3F30084 1E120170
	buffer_load_dwordx4 a[40:43], v42, s[24:27], 0 offen       // 000000007720: E05C1000 8086282A
	v_mfma_f32_16x16x32_fp8_fp8 v[132:135], a[114:115], a[2:3], v[132:135]// 000000007728: D3F30084 1E120572
	v_mfma_f32_16x16x32_fp8_fp8 v[132:135], a[116:117], a[4:5], v[132:135]// 000000007730: D3F30084 1E120974
	v_mfma_f32_16x16x32_fp8_fp8 v[132:135], a[118:119], a[6:7], v[132:135]// 000000007738: D3F30084 1E120D76
	v_mfma_f32_16x16x32_fp8_fp8 v[140:143], a[120:121], a[0:1], v[140:143]// 000000007740: D3F3008C 1E320178
	buffer_load_dwordx4 a[44:47], v42, s[24:27], 0 offen offset:1024// 000000007748: E05C1400 80862C2A
	v_mfma_f32_16x16x32_fp8_fp8 v[140:143], a[122:123], a[2:3], v[140:143]// 000000007750: D3F3008C 1E32057A
	v_mfma_f32_16x16x32_fp8_fp8 v[140:143], a[124:125], a[4:5], v[140:143]// 000000007758: D3F3008C 1E32097C
	v_mfma_f32_16x16x32_fp8_fp8 v[140:143], a[126:127], a[6:7], v[140:143]// 000000007760: D3F3008C 1E320D7E
	v_mfma_f32_16x16x32_fp8_fp8 v[148:151], a[128:129], a[0:1], v[148:151]// 000000007768: D3F30094 1E520180
	buffer_load_dwordx4 a[48:51], v43, s[24:27], 0 offen       // 000000007770: E05C1000 8086302B
	v_mfma_f32_16x16x32_fp8_fp8 v[148:151], a[130:131], a[2:3], v[148:151]// 000000007778: D3F30094 1E520582
	v_mfma_f32_16x16x32_fp8_fp8 v[148:151], a[132:133], a[4:5], v[148:151]// 000000007780: D3F30094 1E520984
	v_mfma_f32_16x16x32_fp8_fp8 v[148:151], a[134:135], a[6:7], v[148:151]// 000000007788: D3F30094 1E520D86
	v_mfma_f32_16x16x32_fp8_fp8 v[156:159], a[136:137], a[0:1], v[156:159]// 000000007790: D3F3009C 1E720188
	buffer_load_dwordx4 a[52:55], v43, s[24:27], 0 offen offset:1024// 000000007798: E05C1400 8086342B
	v_mfma_f32_16x16x32_fp8_fp8 v[156:159], a[138:139], a[2:3], v[156:159]// 0000000077A0: D3F3009C 1E72058A
	v_mfma_f32_16x16x32_fp8_fp8 v[156:159], a[140:141], a[4:5], v[156:159]// 0000000077A8: D3F3009C 1E72098C
	v_mfma_f32_16x16x32_fp8_fp8 v[156:159], a[142:143], a[6:7], v[156:159]// 0000000077B0: D3F3009C 1E720D8E
	v_mfma_f32_16x16x32_fp8_fp8 v[164:167], a[144:145], a[0:1], v[164:167]// 0000000077B8: D3F300A4 1E920190
	buffer_load_dwordx4 a[56:59], v44, s[24:27], 0 offen       // 0000000077C0: E05C1000 8086382C
	v_mfma_f32_16x16x32_fp8_fp8 v[164:167], a[146:147], a[2:3], v[164:167]// 0000000077C8: D3F300A4 1E920592
	v_mfma_f32_16x16x32_fp8_fp8 v[164:167], a[148:149], a[4:5], v[164:167]// 0000000077D0: D3F300A4 1E920994
	v_mfma_f32_16x16x32_fp8_fp8 v[164:167], a[150:151], a[6:7], v[164:167]// 0000000077D8: D3F300A4 1E920D96
	v_mfma_f32_16x16x32_fp8_fp8 v[172:175], a[152:153], a[0:1], v[172:175]// 0000000077E0: D3F300AC 1EB20198
	buffer_load_dwordx4 a[60:63], v44, s[24:27], 0 offen offset:1024// 0000000077E8: E05C1400 80863C2C
	v_mfma_f32_16x16x32_fp8_fp8 v[172:175], a[154:155], a[2:3], v[172:175]// 0000000077F0: D3F300AC 1EB2059A
	v_mfma_f32_16x16x32_fp8_fp8 v[172:175], a[156:157], a[4:5], v[172:175]// 0000000077F8: D3F300AC 1EB2099C
	v_mfma_f32_16x16x32_fp8_fp8 v[172:175], a[158:159], a[6:7], v[172:175]// 000000007800: D3F300AC 1EB20D9E
	v_mfma_f32_16x16x32_fp8_fp8 v[120:123], a[96:97], a[8:9], v[120:123]// 000000007808: D3F30078 1DE21160
	buffer_load_dwordx4 a[64:67], v45, s[24:27], 0 offen       // 000000007810: E05C1000 8086402D
	v_mfma_f32_16x16x32_fp8_fp8 v[120:123], a[98:99], a[10:11], v[120:123]// 000000007818: D3F30078 1DE21562
	v_mfma_f32_16x16x32_fp8_fp8 v[120:123], a[100:101], a[12:13], v[120:123]// 000000007820: D3F30078 1DE21964
	v_mfma_f32_16x16x32_fp8_fp8 v[120:123], a[102:103], a[14:15], v[120:123]// 000000007828: D3F30078 1DE21D66
	v_mfma_f32_16x16x32_fp8_fp8 v[128:131], a[104:105], a[8:9], v[128:131]// 000000007830: D3F30080 1E021168
	buffer_load_dwordx4 a[68:71], v45, s[24:27], 0 offen offset:1024// 000000007838: E05C1400 8086442D
	v_mfma_f32_16x16x32_fp8_fp8 v[128:131], a[106:107], a[10:11], v[128:131]// 000000007840: D3F30080 1E02156A
	v_mfma_f32_16x16x32_fp8_fp8 v[128:131], a[108:109], a[12:13], v[128:131]// 000000007848: D3F30080 1E02196C
	v_mfma_f32_16x16x32_fp8_fp8 v[128:131], a[110:111], a[14:15], v[128:131]// 000000007850: D3F30080 1E021D6E
	v_mfma_f32_16x16x32_fp8_fp8 v[136:139], a[112:113], a[8:9], v[136:139]// 000000007858: D3F30088 1E221170
	buffer_load_dwordx4 a[72:75], v46, s[24:27], 0 offen       // 000000007860: E05C1000 8086482E
	v_mfma_f32_16x16x32_fp8_fp8 v[136:139], a[114:115], a[10:11], v[136:139]// 000000007868: D3F30088 1E221572
	v_mfma_f32_16x16x32_fp8_fp8 v[136:139], a[116:117], a[12:13], v[136:139]// 000000007870: D3F30088 1E221974
	v_mfma_f32_16x16x32_fp8_fp8 v[136:139], a[118:119], a[14:15], v[136:139]// 000000007878: D3F30088 1E221D76
	v_mfma_f32_16x16x32_fp8_fp8 v[144:147], a[120:121], a[8:9], v[144:147]// 000000007880: D3F30090 1E421178
	buffer_load_dwordx4 a[76:79], v46, s[24:27], 0 offen offset:1024// 000000007888: E05C1400 80864C2E
	v_mfma_f32_16x16x32_fp8_fp8 v[144:147], a[122:123], a[10:11], v[144:147]// 000000007890: D3F30090 1E42157A
	v_mfma_f32_16x16x32_fp8_fp8 v[144:147], a[124:125], a[12:13], v[144:147]// 000000007898: D3F30090 1E42197C
	v_mfma_f32_16x16x32_fp8_fp8 v[144:147], a[126:127], a[14:15], v[144:147]// 0000000078A0: D3F30090 1E421D7E
	v_mfma_f32_16x16x32_fp8_fp8 v[152:155], a[128:129], a[8:9], v[152:155]// 0000000078A8: D3F30098 1E621180
	buffer_load_dwordx4 a[80:83], v47, s[24:27], 0 offen       // 0000000078B0: E05C1000 8086502F
	v_mfma_f32_16x16x32_fp8_fp8 v[152:155], a[130:131], a[10:11], v[152:155]// 0000000078B8: D3F30098 1E621582
	v_mfma_f32_16x16x32_fp8_fp8 v[152:155], a[132:133], a[12:13], v[152:155]// 0000000078C0: D3F30098 1E621984
	v_mfma_f32_16x16x32_fp8_fp8 v[152:155], a[134:135], a[14:15], v[152:155]// 0000000078C8: D3F30098 1E621D86
	v_mfma_f32_16x16x32_fp8_fp8 v[160:163], a[136:137], a[8:9], v[160:163]// 0000000078D0: D3F300A0 1E821188
	buffer_load_dwordx4 a[84:87], v47, s[24:27], 0 offen offset:1024// 0000000078D8: E05C1400 8086542F
	v_mfma_f32_16x16x32_fp8_fp8 v[160:163], a[138:139], a[10:11], v[160:163]// 0000000078E0: D3F300A0 1E82158A
	v_mfma_f32_16x16x32_fp8_fp8 v[160:163], a[140:141], a[12:13], v[160:163]// 0000000078E8: D3F300A0 1E82198C
	v_mfma_f32_16x16x32_fp8_fp8 v[160:163], a[142:143], a[14:15], v[160:163]// 0000000078F0: D3F300A0 1E821D8E
	v_mfma_f32_16x16x32_fp8_fp8 v[168:171], a[144:145], a[8:9], v[168:171]// 0000000078F8: D3F300A8 1EA21190
	buffer_load_dwordx4 a[88:91], v48, s[24:27], 0 offen       // 000000007900: E05C1000 80865830
	v_mfma_f32_16x16x32_fp8_fp8 v[168:171], a[146:147], a[10:11], v[168:171]// 000000007908: D3F300A8 1EA21592
	v_mfma_f32_16x16x32_fp8_fp8 v[168:171], a[148:149], a[12:13], v[168:171]// 000000007910: D3F300A8 1EA21994
	s_add_u32 s60, 0x180, s80                                  // 000000007918: 803C50FF 00000180
	s_cmp_lt_u32 s60, s81                                      // 000000007920: BF0A513C
	s_cselect_b32 s57, s57, 0                                  // 000000007924: 85398039
	v_mfma_f32_16x16x32_fp8_fp8 v[168:171], a[150:151], a[14:15], v[168:171]// 000000007928: D3F300A8 1EA21D96
	s_add_u32 s60, 0x100, s80                                  // 000000007930: 803C50FF 00000100
	s_cmp_lt_u32 s60, s81                                      // 000000007938: BF0A513C
	s_cselect_b32 s58, s58, 0                                  // 00000000793C: 853A803A
	v_mfma_f32_16x16x32_fp8_fp8 v[176:179], a[152:153], a[8:9], v[176:179]// 000000007940: D3F300B0 1EC21198
	buffer_load_dwordx4 a[92:95], v48, s[24:27], 0 offen offset:1024// 000000007948: E05C1400 80865C30
	s_add_u32 s24, s58, s24                                    // 000000007950: 8018183A
	s_addc_u32 s25, 0, s25                                     // 000000007954: 82191980
	v_mfma_f32_16x16x32_fp8_fp8 v[176:179], a[154:155], a[10:11], v[176:179]// 000000007958: D3F300B0 1EC2159A
	s_add_u32 s20, s57, s20                                    // 000000007960: 80141439
	s_addc_u32 s21, 0, s21                                     // 000000007964: 82151580
	v_mfma_f32_16x16x32_fp8_fp8 v[176:179], a[156:157], a[12:13], v[176:179]// 000000007968: D3F300B0 1EC2199C
	s_add_u32 s84, s83, s84                                    // 000000007970: 80545453
	s_addc_u32 s85, 0, s85                                     // 000000007974: 82555580
	v_mfma_f32_16x16x32_fp8_fp8 v[176:179], a[158:159], a[14:15], v[176:179]// 000000007978: D3F300B0 1EC21D9E
	s_addk_i32 s80, 0x80                                       // 000000007980: B7500080
	s_cmp_lt_i32 s80, s81                                      // 000000007984: BF045150
	s_cbranch_scc0 label_155D                                  // 000000007988: BF840177
	s_waitcnt vmcnt(14) lgkmcnt(0)                             // 00000000798C: BF8C007E
	s_barrier                                                  // 000000007990: BF8A0000
	v_mfma_f32_16x16x32_fp8_fp8 v[52:55], a[32:33], a[16:17], v[52:55]// 000000007994: D3F30034 1CD22120
	buffer_load_dwordx4 a[96:99], v41, s[84:87], 0 offen       // 00000000799C: E05C1000 80956029
	v_mfma_f32_16x16x32_fp8_fp8 v[52:55], a[34:35], a[18:19], v[52:55]// 0000000079A4: D3F30034 1CD22522
	v_mfma_f32_16x16x32_fp8_fp8 v[52:55], a[36:37], a[20:21], v[52:55]// 0000000079AC: D3F30034 1CD22924
	v_mfma_f32_16x16x32_fp8_fp8 v[52:55], a[38:39], a[22:23], v[52:55]// 0000000079B4: D3F30034 1CD22D26
	v_mfma_f32_16x16x32_fp8_fp8 v[56:59], a[32:33], a[24:25], v[56:59]// 0000000079BC: D3F30038 1CE23120
	buffer_load_dwordx4 a[100:103], v41, s[84:87], 0 offen offset:1024// 0000000079C4: E05C1400 80956429
	v_mfma_f32_16x16x32_fp8_fp8 v[56:59], a[34:35], a[26:27], v[56:59]// 0000000079CC: D3F30038 1CE23522
	v_mfma_f32_16x16x32_fp8_fp8 v[56:59], a[36:37], a[28:29], v[56:59]// 0000000079D4: D3F30038 1CE23924
	v_mfma_f32_16x16x32_fp8_fp8 v[56:59], a[38:39], a[30:31], v[56:59]// 0000000079DC: D3F30038 1CE23D26
	s_waitcnt vmcnt(14)                                        // 0000000079E4: BF8C0F7E
	v_mfma_f32_16x16x32_fp8_fp8 v[60:63], a[40:41], a[16:17], v[60:63]// 0000000079E8: D3F3003C 1CF22128
	buffer_load_dwordx4 a[104:107], v42, s[84:87], 0 offen     // 0000000079F0: E05C1000 8095682A
	v_mfma_f32_16x16x32_fp8_fp8 v[60:63], a[42:43], a[18:19], v[60:63]// 0000000079F8: D3F3003C 1CF2252A
	v_mfma_f32_16x16x32_fp8_fp8 v[60:63], a[44:45], a[20:21], v[60:63]// 000000007A00: D3F3003C 1CF2292C
	v_mfma_f32_16x16x32_fp8_fp8 v[60:63], a[46:47], a[22:23], v[60:63]// 000000007A08: D3F3003C 1CF22D2E
	v_mfma_f32_16x16x32_fp8_fp8 v[64:67], a[40:41], a[24:25], v[64:67]// 000000007A10: D3F30040 1D023128
	buffer_load_dwordx4 a[108:111], v42, s[84:87], 0 offen offset:1024// 000000007A18: E05C1400 80956C2A
	v_mfma_f32_16x16x32_fp8_fp8 v[64:67], a[42:43], a[26:27], v[64:67]// 000000007A20: D3F30040 1D02352A
	v_mfma_f32_16x16x32_fp8_fp8 v[64:67], a[44:45], a[28:29], v[64:67]// 000000007A28: D3F30040 1D02392C
	v_mfma_f32_16x16x32_fp8_fp8 v[64:67], a[46:47], a[30:31], v[64:67]// 000000007A30: D3F30040 1D023D2E
	s_waitcnt vmcnt(14)                                        // 000000007A38: BF8C0F7E
	v_mfma_f32_16x16x32_fp8_fp8 v[68:71], a[48:49], a[16:17], v[68:71]// 000000007A3C: D3F30044 1D122130
	buffer_load_dwordx4 a[112:115], v43, s[84:87], 0 offen     // 000000007A44: E05C1000 8095702B
	v_mfma_f32_16x16x32_fp8_fp8 v[68:71], a[50:51], a[18:19], v[68:71]// 000000007A4C: D3F30044 1D122532
	v_mfma_f32_16x16x32_fp8_fp8 v[68:71], a[52:53], a[20:21], v[68:71]// 000000007A54: D3F30044 1D122934
	v_mfma_f32_16x16x32_fp8_fp8 v[68:71], a[54:55], a[22:23], v[68:71]// 000000007A5C: D3F30044 1D122D36
	v_mfma_f32_16x16x32_fp8_fp8 v[72:75], a[48:49], a[24:25], v[72:75]// 000000007A64: D3F30048 1D223130
	buffer_load_dwordx4 a[116:119], v43, s[84:87], 0 offen offset:1024// 000000007A6C: E05C1400 8095742B
	v_mfma_f32_16x16x32_fp8_fp8 v[72:75], a[50:51], a[26:27], v[72:75]// 000000007A74: D3F30048 1D223532
	v_mfma_f32_16x16x32_fp8_fp8 v[72:75], a[52:53], a[28:29], v[72:75]// 000000007A7C: D3F30048 1D223934
	v_mfma_f32_16x16x32_fp8_fp8 v[72:75], a[54:55], a[30:31], v[72:75]// 000000007A84: D3F30048 1D223D36
	s_waitcnt vmcnt(14)                                        // 000000007A8C: BF8C0F7E
	v_mfma_f32_16x16x32_fp8_fp8 v[76:79], a[56:57], a[16:17], v[76:79]// 000000007A90: D3F3004C 1D322138
	buffer_load_dwordx4 a[120:123], v44, s[84:87], 0 offen     // 000000007A98: E05C1000 8095782C
	v_mfma_f32_16x16x32_fp8_fp8 v[76:79], a[58:59], a[18:19], v[76:79]// 000000007AA0: D3F3004C 1D32253A
	v_mfma_f32_16x16x32_fp8_fp8 v[76:79], a[60:61], a[20:21], v[76:79]// 000000007AA8: D3F3004C 1D32293C
	v_mfma_f32_16x16x32_fp8_fp8 v[76:79], a[62:63], a[22:23], v[76:79]// 000000007AB0: D3F3004C 1D322D3E
	v_mfma_f32_16x16x32_fp8_fp8 v[80:83], a[56:57], a[24:25], v[80:83]// 000000007AB8: D3F30050 1D423138
	buffer_load_dwordx4 a[124:127], v44, s[84:87], 0 offen offset:1024// 000000007AC0: E05C1400 80957C2C
	v_mfma_f32_16x16x32_fp8_fp8 v[80:83], a[58:59], a[26:27], v[80:83]// 000000007AC8: D3F30050 1D42353A
	v_mfma_f32_16x16x32_fp8_fp8 v[80:83], a[60:61], a[28:29], v[80:83]// 000000007AD0: D3F30050 1D42393C
	v_mfma_f32_16x16x32_fp8_fp8 v[80:83], a[62:63], a[30:31], v[80:83]// 000000007AD8: D3F30050 1D423D3E
	s_waitcnt vmcnt(14)                                        // 000000007AE0: BF8C0F7E
	v_mfma_f32_16x16x32_fp8_fp8 v[84:87], a[64:65], a[16:17], v[84:87]// 000000007AE4: D3F30054 1D522140
	buffer_load_dwordx4 a[128:131], v45, s[84:87], 0 offen     // 000000007AEC: E05C1000 8095802D
	v_mfma_f32_16x16x32_fp8_fp8 v[84:87], a[66:67], a[18:19], v[84:87]// 000000007AF4: D3F30054 1D522542
	v_mfma_f32_16x16x32_fp8_fp8 v[84:87], a[68:69], a[20:21], v[84:87]// 000000007AFC: D3F30054 1D522944
	v_mfma_f32_16x16x32_fp8_fp8 v[84:87], a[70:71], a[22:23], v[84:87]// 000000007B04: D3F30054 1D522D46
	v_mfma_f32_16x16x32_fp8_fp8 v[88:91], a[64:65], a[24:25], v[88:91]// 000000007B0C: D3F30058 1D623140
	buffer_load_dwordx4 a[132:135], v45, s[84:87], 0 offen offset:1024// 000000007B14: E05C1400 8095842D
	v_mfma_f32_16x16x32_fp8_fp8 v[88:91], a[66:67], a[26:27], v[88:91]// 000000007B1C: D3F30058 1D623542
	v_mfma_f32_16x16x32_fp8_fp8 v[88:91], a[68:69], a[28:29], v[88:91]// 000000007B24: D3F30058 1D623944
	v_mfma_f32_16x16x32_fp8_fp8 v[88:91], a[70:71], a[30:31], v[88:91]// 000000007B2C: D3F30058 1D623D46
	s_waitcnt vmcnt(14)                                        // 000000007B34: BF8C0F7E
	v_mfma_f32_16x16x32_fp8_fp8 v[92:95], a[72:73], a[16:17], v[92:95]// 000000007B38: D3F3005C 1D722148
	buffer_load_dwordx4 a[136:139], v46, s[84:87], 0 offen     // 000000007B40: E05C1000 8095882E
	v_mfma_f32_16x16x32_fp8_fp8 v[92:95], a[74:75], a[18:19], v[92:95]// 000000007B48: D3F3005C 1D72254A
	v_mfma_f32_16x16x32_fp8_fp8 v[92:95], a[76:77], a[20:21], v[92:95]// 000000007B50: D3F3005C 1D72294C
	v_mfma_f32_16x16x32_fp8_fp8 v[92:95], a[78:79], a[22:23], v[92:95]// 000000007B58: D3F3005C 1D722D4E
	v_mfma_f32_16x16x32_fp8_fp8 v[96:99], a[72:73], a[24:25], v[96:99]// 000000007B60: D3F30060 1D823148
	buffer_load_dwordx4 a[140:143], v46, s[84:87], 0 offen offset:1024// 000000007B68: E05C1400 80958C2E
	v_mfma_f32_16x16x32_fp8_fp8 v[96:99], a[74:75], a[26:27], v[96:99]// 000000007B70: D3F30060 1D82354A
	v_mfma_f32_16x16x32_fp8_fp8 v[96:99], a[76:77], a[28:29], v[96:99]// 000000007B78: D3F30060 1D82394C
	v_mfma_f32_16x16x32_fp8_fp8 v[96:99], a[78:79], a[30:31], v[96:99]// 000000007B80: D3F30060 1D823D4E
	s_waitcnt vmcnt(14)                                        // 000000007B88: BF8C0F7E
	v_mfma_f32_16x16x32_fp8_fp8 v[100:103], a[80:81], a[16:17], v[100:103]// 000000007B8C: D3F30064 1D922150
	buffer_load_dwordx4 a[144:147], v47, s[84:87], 0 offen     // 000000007B94: E05C1000 8095902F
	v_mfma_f32_16x16x32_fp8_fp8 v[100:103], a[82:83], a[18:19], v[100:103]// 000000007B9C: D3F30064 1D922552
	v_mfma_f32_16x16x32_fp8_fp8 v[100:103], a[84:85], a[20:21], v[100:103]// 000000007BA4: D3F30064 1D922954
	v_mfma_f32_16x16x32_fp8_fp8 v[100:103], a[86:87], a[22:23], v[100:103]// 000000007BAC: D3F30064 1D922D56
	v_mfma_f32_16x16x32_fp8_fp8 v[104:107], a[80:81], a[24:25], v[104:107]// 000000007BB4: D3F30068 1DA23150
	buffer_load_dwordx4 a[148:151], v47, s[84:87], 0 offen offset:1024// 000000007BBC: E05C1400 8095942F
	v_mfma_f32_16x16x32_fp8_fp8 v[104:107], a[82:83], a[26:27], v[104:107]// 000000007BC4: D3F30068 1DA23552
	v_mfma_f32_16x16x32_fp8_fp8 v[104:107], a[84:85], a[28:29], v[104:107]// 000000007BCC: D3F30068 1DA23954
	v_mfma_f32_16x16x32_fp8_fp8 v[104:107], a[86:87], a[30:31], v[104:107]// 000000007BD4: D3F30068 1DA23D56
	s_waitcnt vmcnt(14)                                        // 000000007BDC: BF8C0F7E
	v_mfma_f32_16x16x32_fp8_fp8 v[108:111], a[88:89], a[16:17], v[108:111]// 000000007BE0: D3F3006C 1DB22158
	buffer_load_dwordx4 a[152:155], v48, s[84:87], 0 offen     // 000000007BE8: E05C1000 80959830
	v_mfma_f32_16x16x32_fp8_fp8 v[108:111], a[90:91], a[18:19], v[108:111]// 000000007BF0: D3F3006C 1DB2255A
	v_mfma_f32_16x16x32_fp8_fp8 v[108:111], a[92:93], a[20:21], v[108:111]// 000000007BF8: D3F3006C 1DB2295C
	v_mfma_f32_16x16x32_fp8_fp8 v[108:111], a[94:95], a[22:23], v[108:111]// 000000007C00: D3F3006C 1DB22D5E
	v_mfma_f32_16x16x32_fp8_fp8 v[112:115], a[88:89], a[24:25], v[112:115]// 000000007C08: D3F30070 1DC23158
	buffer_load_dwordx4 a[156:159], v48, s[84:87], 0 offen offset:1024// 000000007C10: E05C1400 80959C30
	buffer_load_dword v37, s[20:23], 0 offen lds               // 000000007C18: E0511000 80050025
	s_add_u32 m0, 0x100, s49                                   // 000000007C20: 807C31FF 00000100
	v_mfma_f32_16x16x32_fp8_fp8 v[112:115], a[90:91], a[26:27], v[112:115]// 000000007C28: D3F30070 1DC2355A
	s_add_u32 s60, 0x80, s80                                   // 000000007C30: 803C50FF 00000080
	s_cmp_lt_u32 s60, s81                                      // 000000007C38: BF0A513C
	s_cselect_b32 s83, s83, 0                                  // 000000007C3C: 85538053
	v_mfma_f32_16x16x32_fp8_fp8 v[112:115], a[92:93], a[28:29], v[112:115]// 000000007C40: D3F30070 1DC2395C
	buffer_load_dword v38, s[20:23], 0 offen lds               // 000000007C48: E0511000 80050026
	s_add_u32 m0, 0x200, s49                                   // 000000007C50: 807C31FF 00000200
	v_mfma_f32_16x16x32_fp8_fp8 v[112:115], a[94:95], a[30:31], v[112:115]// 000000007C58: D3F30070 1DC23D5E
	buffer_load_dword v39, s[20:23], 0 offen lds               // 000000007C60: E0511000 80050027
	s_add_u32 m0, 0x300, s49                                   // 000000007C68: 807C31FF 00000300
	buffer_load_dword v40, s[20:23], 0 offen lds               // 000000007C70: E0511000 80050028
	s_add_u32 m0, 0, s48                                       // 000000007C78: 807C3080
	s_waitcnt vmcnt(4)                                         // 000000007C7C: BF8C0F74
	v_mfma_f32_16x16x32_fp8_fp8 v[116:119], a[96:97], a[16:17], v[116:119]// 000000007C80: D3F30074 1DD22160
	buffer_load_dwordx4 a[32:35], v41, s[24:27], 0 offen       // 000000007C88: E05C1000 80862029
	v_mfma_f32_16x16x32_fp8_fp8 v[116:119], a[98:99], a[18:19], v[116:119]// 000000007C90: D3F30074 1DD22562
	v_mfma_f32_16x16x32_fp8_fp8 v[116:119], a[100:101], a[20:21], v[116:119]// 000000007C98: D3F30074 1DD22964
	ds_read_b128 a[0:3], v2                                    // 000000007CA0: DBFE0000 00000002
	ds_read_b128 a[4:7], v2 offset:64                          // 000000007CA8: DBFE0040 04000002
	v_mfma_f32_16x16x32_fp8_fp8 v[116:119], a[102:103], a[22:23], v[116:119]// 000000007CB0: D3F30074 1DD22D66
	v_mfma_f32_16x16x32_fp8_fp8 v[124:127], a[104:105], a[16:17], v[124:127]// 000000007CB8: D3F3007C 1DF22168
	buffer_load_dwordx4 a[36:39], v41, s[24:27], 0 offen offset:1024// 000000007CC0: E05C1400 80862429
	v_mfma_f32_16x16x32_fp8_fp8 v[124:127], a[106:107], a[18:19], v[124:127]// 000000007CC8: D3F3007C 1DF2256A
	v_mfma_f32_16x16x32_fp8_fp8 v[124:127], a[108:109], a[20:21], v[124:127]// 000000007CD0: D3F3007C 1DF2296C
	ds_read_b128 a[8:11], v2 offset:512                        // 000000007CD8: DBFE0200 08000002
	ds_read_b128 a[12:15], v2 offset:576                       // 000000007CE0: DBFE0240 0C000002
	v_mfma_f32_16x16x32_fp8_fp8 v[124:127], a[110:111], a[22:23], v[124:127]// 000000007CE8: D3F3007C 1DF22D6E
	v_mfma_f32_16x16x32_fp8_fp8 v[132:135], a[112:113], a[16:17], v[132:135]// 000000007CF0: D3F30084 1E122170
	buffer_load_dwordx4 a[40:43], v42, s[24:27], 0 offen       // 000000007CF8: E05C1000 8086282A
	v_mfma_f32_16x16x32_fp8_fp8 v[132:135], a[114:115], a[18:19], v[132:135]// 000000007D00: D3F30084 1E122572
	v_mfma_f32_16x16x32_fp8_fp8 v[132:135], a[116:117], a[20:21], v[132:135]// 000000007D08: D3F30084 1E122974
	v_mfma_f32_16x16x32_fp8_fp8 v[132:135], a[118:119], a[22:23], v[132:135]// 000000007D10: D3F30084 1E122D76
	v_mfma_f32_16x16x32_fp8_fp8 v[140:143], a[120:121], a[16:17], v[140:143]// 000000007D18: D3F3008C 1E322178
	buffer_load_dwordx4 a[44:47], v42, s[24:27], 0 offen offset:1024// 000000007D20: E05C1400 80862C2A
	v_mfma_f32_16x16x32_fp8_fp8 v[140:143], a[122:123], a[18:19], v[140:143]// 000000007D28: D3F3008C 1E32257A
	v_mfma_f32_16x16x32_fp8_fp8 v[140:143], a[124:125], a[20:21], v[140:143]// 000000007D30: D3F3008C 1E32297C
	v_mfma_f32_16x16x32_fp8_fp8 v[140:143], a[126:127], a[22:23], v[140:143]// 000000007D38: D3F3008C 1E322D7E
	v_mfma_f32_16x16x32_fp8_fp8 v[148:151], a[128:129], a[16:17], v[148:151]// 000000007D40: D3F30094 1E522180
	buffer_load_dwordx4 a[48:51], v43, s[24:27], 0 offen       // 000000007D48: E05C1000 8086302B
	v_mfma_f32_16x16x32_fp8_fp8 v[148:151], a[130:131], a[18:19], v[148:151]// 000000007D50: D3F30094 1E522582
	v_mfma_f32_16x16x32_fp8_fp8 v[148:151], a[132:133], a[20:21], v[148:151]// 000000007D58: D3F30094 1E522984
	v_mfma_f32_16x16x32_fp8_fp8 v[148:151], a[134:135], a[22:23], v[148:151]// 000000007D60: D3F30094 1E522D86
	v_mfma_f32_16x16x32_fp8_fp8 v[156:159], a[136:137], a[16:17], v[156:159]// 000000007D68: D3F3009C 1E722188
	buffer_load_dwordx4 a[52:55], v43, s[24:27], 0 offen offset:1024// 000000007D70: E05C1400 8086342B
	v_mfma_f32_16x16x32_fp8_fp8 v[156:159], a[138:139], a[18:19], v[156:159]// 000000007D78: D3F3009C 1E72258A
	v_mfma_f32_16x16x32_fp8_fp8 v[156:159], a[140:141], a[20:21], v[156:159]// 000000007D80: D3F3009C 1E72298C
	v_mfma_f32_16x16x32_fp8_fp8 v[156:159], a[142:143], a[22:23], v[156:159]// 000000007D88: D3F3009C 1E722D8E
	v_mfma_f32_16x16x32_fp8_fp8 v[164:167], a[144:145], a[16:17], v[164:167]// 000000007D90: D3F300A4 1E922190
	buffer_load_dwordx4 a[56:59], v44, s[24:27], 0 offen       // 000000007D98: E05C1000 8086382C
	v_mfma_f32_16x16x32_fp8_fp8 v[164:167], a[146:147], a[18:19], v[164:167]// 000000007DA0: D3F300A4 1E922592
	v_mfma_f32_16x16x32_fp8_fp8 v[164:167], a[148:149], a[20:21], v[164:167]// 000000007DA8: D3F300A4 1E922994
	v_mfma_f32_16x16x32_fp8_fp8 v[164:167], a[150:151], a[22:23], v[164:167]// 000000007DB0: D3F300A4 1E922D96
	v_mfma_f32_16x16x32_fp8_fp8 v[172:175], a[152:153], a[16:17], v[172:175]// 000000007DB8: D3F300AC 1EB22198
	buffer_load_dwordx4 a[60:63], v44, s[24:27], 0 offen offset:1024// 000000007DC0: E05C1400 80863C2C
	v_mfma_f32_16x16x32_fp8_fp8 v[172:175], a[154:155], a[18:19], v[172:175]// 000000007DC8: D3F300AC 1EB2259A
	v_mfma_f32_16x16x32_fp8_fp8 v[172:175], a[156:157], a[20:21], v[172:175]// 000000007DD0: D3F300AC 1EB2299C
	v_mfma_f32_16x16x32_fp8_fp8 v[172:175], a[158:159], a[22:23], v[172:175]// 000000007DD8: D3F300AC 1EB22D9E
	v_mfma_f32_16x16x32_fp8_fp8 v[120:123], a[96:97], a[24:25], v[120:123]// 000000007DE0: D3F30078 1DE23160
	buffer_load_dwordx4 a[64:67], v45, s[24:27], 0 offen       // 000000007DE8: E05C1000 8086402D
	v_mfma_f32_16x16x32_fp8_fp8 v[120:123], a[98:99], a[26:27], v[120:123]// 000000007DF0: D3F30078 1DE23562
	v_mfma_f32_16x16x32_fp8_fp8 v[120:123], a[100:101], a[28:29], v[120:123]// 000000007DF8: D3F30078 1DE23964
	v_mfma_f32_16x16x32_fp8_fp8 v[120:123], a[102:103], a[30:31], v[120:123]// 000000007E00: D3F30078 1DE23D66
	v_mfma_f32_16x16x32_fp8_fp8 v[128:131], a[104:105], a[24:25], v[128:131]// 000000007E08: D3F30080 1E023168
	buffer_load_dwordx4 a[68:71], v45, s[24:27], 0 offen offset:1024// 000000007E10: E05C1400 8086442D
	v_mfma_f32_16x16x32_fp8_fp8 v[128:131], a[106:107], a[26:27], v[128:131]// 000000007E18: D3F30080 1E02356A
	v_mfma_f32_16x16x32_fp8_fp8 v[128:131], a[108:109], a[28:29], v[128:131]// 000000007E20: D3F30080 1E02396C
	v_mfma_f32_16x16x32_fp8_fp8 v[128:131], a[110:111], a[30:31], v[128:131]// 000000007E28: D3F30080 1E023D6E
	v_mfma_f32_16x16x32_fp8_fp8 v[136:139], a[112:113], a[24:25], v[136:139]// 000000007E30: D3F30088 1E223170
	buffer_load_dwordx4 a[72:75], v46, s[24:27], 0 offen       // 000000007E38: E05C1000 8086482E
	v_mfma_f32_16x16x32_fp8_fp8 v[136:139], a[114:115], a[26:27], v[136:139]// 000000007E40: D3F30088 1E223572
	v_mfma_f32_16x16x32_fp8_fp8 v[136:139], a[116:117], a[28:29], v[136:139]// 000000007E48: D3F30088 1E223974
	v_mfma_f32_16x16x32_fp8_fp8 v[136:139], a[118:119], a[30:31], v[136:139]// 000000007E50: D3F30088 1E223D76
	v_mfma_f32_16x16x32_fp8_fp8 v[144:147], a[120:121], a[24:25], v[144:147]// 000000007E58: D3F30090 1E423178
	buffer_load_dwordx4 a[76:79], v46, s[24:27], 0 offen offset:1024// 000000007E60: E05C1400 80864C2E
	v_mfma_f32_16x16x32_fp8_fp8 v[144:147], a[122:123], a[26:27], v[144:147]// 000000007E68: D3F30090 1E42357A
	v_mfma_f32_16x16x32_fp8_fp8 v[144:147], a[124:125], a[28:29], v[144:147]// 000000007E70: D3F30090 1E42397C
	v_mfma_f32_16x16x32_fp8_fp8 v[144:147], a[126:127], a[30:31], v[144:147]// 000000007E78: D3F30090 1E423D7E
	v_mfma_f32_16x16x32_fp8_fp8 v[152:155], a[128:129], a[24:25], v[152:155]// 000000007E80: D3F30098 1E623180
	buffer_load_dwordx4 a[80:83], v47, s[24:27], 0 offen       // 000000007E88: E05C1000 8086502F
	v_mfma_f32_16x16x32_fp8_fp8 v[152:155], a[130:131], a[26:27], v[152:155]// 000000007E90: D3F30098 1E623582
	v_mfma_f32_16x16x32_fp8_fp8 v[152:155], a[132:133], a[28:29], v[152:155]// 000000007E98: D3F30098 1E623984
	v_mfma_f32_16x16x32_fp8_fp8 v[152:155], a[134:135], a[30:31], v[152:155]// 000000007EA0: D3F30098 1E623D86
	v_mfma_f32_16x16x32_fp8_fp8 v[160:163], a[136:137], a[24:25], v[160:163]// 000000007EA8: D3F300A0 1E823188
	buffer_load_dwordx4 a[84:87], v47, s[24:27], 0 offen offset:1024// 000000007EB0: E05C1400 8086542F
	v_mfma_f32_16x16x32_fp8_fp8 v[160:163], a[138:139], a[26:27], v[160:163]// 000000007EB8: D3F300A0 1E82358A
	v_mfma_f32_16x16x32_fp8_fp8 v[160:163], a[140:141], a[28:29], v[160:163]// 000000007EC0: D3F300A0 1E82398C
	v_mfma_f32_16x16x32_fp8_fp8 v[160:163], a[142:143], a[30:31], v[160:163]// 000000007EC8: D3F300A0 1E823D8E
	v_mfma_f32_16x16x32_fp8_fp8 v[168:171], a[144:145], a[24:25], v[168:171]// 000000007ED0: D3F300A8 1EA23190
	buffer_load_dwordx4 a[88:91], v48, s[24:27], 0 offen       // 000000007ED8: E05C1000 80865830
	v_mfma_f32_16x16x32_fp8_fp8 v[168:171], a[146:147], a[26:27], v[168:171]// 000000007EE0: D3F300A8 1EA23592
	v_mfma_f32_16x16x32_fp8_fp8 v[168:171], a[148:149], a[28:29], v[168:171]// 000000007EE8: D3F300A8 1EA23994
	s_add_u32 s60, 0x180, s80                                  // 000000007EF0: 803C50FF 00000180
	s_cmp_lt_u32 s60, s81                                      // 000000007EF8: BF0A513C
	s_cselect_b32 s57, s57, 0                                  // 000000007EFC: 85398039
	v_mfma_f32_16x16x32_fp8_fp8 v[168:171], a[150:151], a[30:31], v[168:171]// 000000007F00: D3F300A8 1EA23D96
	s_add_u32 s60, 0x100, s80                                  // 000000007F08: 803C50FF 00000100
	s_cmp_lt_u32 s60, s81                                      // 000000007F10: BF0A513C
	s_cselect_b32 s58, s58, 0                                  // 000000007F14: 853A803A
	v_mfma_f32_16x16x32_fp8_fp8 v[176:179], a[152:153], a[24:25], v[176:179]// 000000007F18: D3F300B0 1EC23198
	buffer_load_dwordx4 a[92:95], v48, s[24:27], 0 offen offset:1024// 000000007F20: E05C1400 80865C30
	s_add_u32 s24, s58, s24                                    // 000000007F28: 8018183A
	s_addc_u32 s25, 0, s25                                     // 000000007F2C: 82191980
	v_mfma_f32_16x16x32_fp8_fp8 v[176:179], a[154:155], a[26:27], v[176:179]// 000000007F30: D3F300B0 1EC2359A
	s_add_u32 s20, s57, s20                                    // 000000007F38: 80141439
	s_addc_u32 s21, 0, s21                                     // 000000007F3C: 82151580
	v_mfma_f32_16x16x32_fp8_fp8 v[176:179], a[156:157], a[28:29], v[176:179]// 000000007F40: D3F300B0 1EC2399C
	s_add_u32 s84, s83, s84                                    // 000000007F48: 80545453
	s_addc_u32 s85, 0, s85                                     // 000000007F4C: 82555580
	v_mfma_f32_16x16x32_fp8_fp8 v[176:179], a[158:159], a[30:31], v[176:179]// 000000007F50: D3F300B0 1EC23D9E
	s_addk_i32 s80, 0x80                                       // 000000007F58: B7500080
	s_cmp_lt_i32 s80, s81                                      // 000000007F5C: BF045150
	s_cbranch_scc0 label_155D                                  // 000000007F60: BF840001
	s_branch label_1270                                        // 000000007F64: BF82FD13

0000000000007f68 <label_155D>:
	v_mul_f32_dpp v52, v25, v52 row_newbcast:0 row_mask:0xf bank_mask:0xf// 000000007F68: 0A6868FA FF015019
	v_mul_f32_dpp v53, v25, v53 row_newbcast:1 row_mask:0xf bank_mask:0xf// 000000007F70: 0A6A6AFA FF015119
	v_mul_f32_dpp v54, v25, v54 row_newbcast:2 row_mask:0xf bank_mask:0xf// 000000007F78: 0A6C6CFA FF015219
	v_mul_f32_dpp v55, v25, v55 row_newbcast:3 row_mask:0xf bank_mask:0xf// 000000007F80: 0A6E6EFA FF015319
	v_mul_f32_dpp v56, v25, v56 row_newbcast:0 row_mask:0xf bank_mask:0xf// 000000007F88: 0A7070FA FF015019
	v_mul_f32_dpp v57, v25, v57 row_newbcast:1 row_mask:0xf bank_mask:0xf// 000000007F90: 0A7272FA FF015119
	v_mul_f32_dpp v58, v25, v58 row_newbcast:2 row_mask:0xf bank_mask:0xf// 000000007F98: 0A7474FA FF015219
	v_mul_f32_dpp v59, v25, v59 row_newbcast:3 row_mask:0xf bank_mask:0xf// 000000007FA0: 0A7676FA FF015319
	v_mul_f32_dpp v60, v25, v60 row_newbcast:4 row_mask:0xf bank_mask:0xf// 000000007FA8: 0A7878FA FF015419
	v_mul_f32_dpp v61, v25, v61 row_newbcast:5 row_mask:0xf bank_mask:0xf// 000000007FB0: 0A7A7AFA FF015519
	v_mul_f32_dpp v62, v25, v62 row_newbcast:6 row_mask:0xf bank_mask:0xf// 000000007FB8: 0A7C7CFA FF015619
	v_mul_f32_dpp v63, v25, v63 row_newbcast:7 row_mask:0xf bank_mask:0xf// 000000007FC0: 0A7E7EFA FF015719
	v_mul_f32_dpp v64, v25, v64 row_newbcast:4 row_mask:0xf bank_mask:0xf// 000000007FC8: 0A8080FA FF015419
	v_mul_f32_dpp v65, v25, v65 row_newbcast:5 row_mask:0xf bank_mask:0xf// 000000007FD0: 0A8282FA FF015519
	v_mul_f32_dpp v66, v25, v66 row_newbcast:6 row_mask:0xf bank_mask:0xf// 000000007FD8: 0A8484FA FF015619
	v_mul_f32_dpp v67, v25, v67 row_newbcast:7 row_mask:0xf bank_mask:0xf// 000000007FE0: 0A8686FA FF015719
	v_mul_f32_dpp v68, v25, v68 row_newbcast:8 row_mask:0xf bank_mask:0xf// 000000007FE8: 0A8888FA FF015819
	v_mul_f32_dpp v69, v25, v69 row_newbcast:9 row_mask:0xf bank_mask:0xf// 000000007FF0: 0A8A8AFA FF015919
	v_mul_f32_dpp v70, v25, v70 row_newbcast:10 row_mask:0xf bank_mask:0xf// 000000007FF8: 0A8C8CFA FF015A19
	v_mul_f32_dpp v71, v25, v71 row_newbcast:11 row_mask:0xf bank_mask:0xf// 000000008000: 0A8E8EFA FF015B19
	v_mul_f32_dpp v72, v25, v72 row_newbcast:8 row_mask:0xf bank_mask:0xf// 000000008008: 0A9090FA FF015819
	v_mul_f32_dpp v73, v25, v73 row_newbcast:9 row_mask:0xf bank_mask:0xf// 000000008010: 0A9292FA FF015919
	v_mul_f32_dpp v74, v25, v74 row_newbcast:10 row_mask:0xf bank_mask:0xf// 000000008018: 0A9494FA FF015A19
	v_mul_f32_dpp v75, v25, v75 row_newbcast:11 row_mask:0xf bank_mask:0xf// 000000008020: 0A9696FA FF015B19
	v_mul_f32_dpp v76, v25, v76 row_newbcast:12 row_mask:0xf bank_mask:0xf// 000000008028: 0A9898FA FF015C19
	v_mul_f32_dpp v77, v25, v77 row_newbcast:13 row_mask:0xf bank_mask:0xf// 000000008030: 0A9A9AFA FF015D19
	v_mul_f32_dpp v78, v25, v78 row_newbcast:14 row_mask:0xf bank_mask:0xf// 000000008038: 0A9C9CFA FF015E19
	v_mul_f32_dpp v79, v25, v79 row_newbcast:15 row_mask:0xf bank_mask:0xf// 000000008040: 0A9E9EFA FF015F19
	v_mul_f32_dpp v80, v25, v80 row_newbcast:12 row_mask:0xf bank_mask:0xf// 000000008048: 0AA0A0FA FF015C19
	v_mul_f32_dpp v81, v25, v81 row_newbcast:13 row_mask:0xf bank_mask:0xf// 000000008050: 0AA2A2FA FF015D19
	v_mul_f32_dpp v82, v25, v82 row_newbcast:14 row_mask:0xf bank_mask:0xf// 000000008058: 0AA4A4FA FF015E19
	v_mul_f32_dpp v83, v25, v83 row_newbcast:15 row_mask:0xf bank_mask:0xf// 000000008060: 0AA6A6FA FF015F19
	v_mul_f32_dpp v84, v26, v84 row_newbcast:0 row_mask:0xf bank_mask:0xf// 000000008068: 0AA8A8FA FF01501A
	v_mul_f32_dpp v85, v26, v85 row_newbcast:1 row_mask:0xf bank_mask:0xf// 000000008070: 0AAAAAFA FF01511A
	v_mul_f32_dpp v86, v26, v86 row_newbcast:2 row_mask:0xf bank_mask:0xf// 000000008078: 0AACACFA FF01521A
	v_mul_f32_dpp v87, v26, v87 row_newbcast:3 row_mask:0xf bank_mask:0xf// 000000008080: 0AAEAEFA FF01531A
	v_mul_f32_dpp v88, v26, v88 row_newbcast:0 row_mask:0xf bank_mask:0xf// 000000008088: 0AB0B0FA FF01501A
	v_mul_f32_dpp v89, v26, v89 row_newbcast:1 row_mask:0xf bank_mask:0xf// 000000008090: 0AB2B2FA FF01511A
	v_mul_f32_dpp v90, v26, v90 row_newbcast:2 row_mask:0xf bank_mask:0xf// 000000008098: 0AB4B4FA FF01521A
	v_mul_f32_dpp v91, v26, v91 row_newbcast:3 row_mask:0xf bank_mask:0xf// 0000000080A0: 0AB6B6FA FF01531A
	v_mul_f32_dpp v92, v26, v92 row_newbcast:4 row_mask:0xf bank_mask:0xf// 0000000080A8: 0AB8B8FA FF01541A
	v_mul_f32_dpp v93, v26, v93 row_newbcast:5 row_mask:0xf bank_mask:0xf// 0000000080B0: 0ABABAFA FF01551A
	v_mul_f32_dpp v94, v26, v94 row_newbcast:6 row_mask:0xf bank_mask:0xf// 0000000080B8: 0ABCBCFA FF01561A
	v_mul_f32_dpp v95, v26, v95 row_newbcast:7 row_mask:0xf bank_mask:0xf// 0000000080C0: 0ABEBEFA FF01571A
	v_mul_f32_dpp v96, v26, v96 row_newbcast:4 row_mask:0xf bank_mask:0xf// 0000000080C8: 0AC0C0FA FF01541A
	v_mul_f32_dpp v97, v26, v97 row_newbcast:5 row_mask:0xf bank_mask:0xf// 0000000080D0: 0AC2C2FA FF01551A
	v_mul_f32_dpp v98, v26, v98 row_newbcast:6 row_mask:0xf bank_mask:0xf// 0000000080D8: 0AC4C4FA FF01561A
	v_mul_f32_dpp v99, v26, v99 row_newbcast:7 row_mask:0xf bank_mask:0xf// 0000000080E0: 0AC6C6FA FF01571A
	v_mul_f32_dpp v100, v26, v100 row_newbcast:8 row_mask:0xf bank_mask:0xf// 0000000080E8: 0AC8C8FA FF01581A
	v_mul_f32_dpp v101, v26, v101 row_newbcast:9 row_mask:0xf bank_mask:0xf// 0000000080F0: 0ACACAFA FF01591A
	v_mul_f32_dpp v102, v26, v102 row_newbcast:10 row_mask:0xf bank_mask:0xf// 0000000080F8: 0ACCCCFA FF015A1A
	v_mul_f32_dpp v103, v26, v103 row_newbcast:11 row_mask:0xf bank_mask:0xf// 000000008100: 0ACECEFA FF015B1A
	v_mul_f32_dpp v104, v26, v104 row_newbcast:8 row_mask:0xf bank_mask:0xf// 000000008108: 0AD0D0FA FF01581A
	v_mul_f32_dpp v105, v26, v105 row_newbcast:9 row_mask:0xf bank_mask:0xf// 000000008110: 0AD2D2FA FF01591A
	v_mul_f32_dpp v106, v26, v106 row_newbcast:10 row_mask:0xf bank_mask:0xf// 000000008118: 0AD4D4FA FF015A1A
	v_mul_f32_dpp v107, v26, v107 row_newbcast:11 row_mask:0xf bank_mask:0xf// 000000008120: 0AD6D6FA FF015B1A
	v_mul_f32_dpp v108, v26, v108 row_newbcast:12 row_mask:0xf bank_mask:0xf// 000000008128: 0AD8D8FA FF015C1A
	v_mul_f32_dpp v109, v26, v109 row_newbcast:13 row_mask:0xf bank_mask:0xf// 000000008130: 0ADADAFA FF015D1A
	v_mul_f32_dpp v110, v26, v110 row_newbcast:14 row_mask:0xf bank_mask:0xf// 000000008138: 0ADCDCFA FF015E1A
	v_mul_f32_dpp v111, v26, v111 row_newbcast:15 row_mask:0xf bank_mask:0xf// 000000008140: 0ADEDEFA FF015F1A
	v_mul_f32_dpp v112, v26, v112 row_newbcast:12 row_mask:0xf bank_mask:0xf// 000000008148: 0AE0E0FA FF015C1A
	v_mul_f32_dpp v113, v26, v113 row_newbcast:13 row_mask:0xf bank_mask:0xf// 000000008150: 0AE2E2FA FF015D1A
	v_mul_f32_dpp v114, v26, v114 row_newbcast:14 row_mask:0xf bank_mask:0xf// 000000008158: 0AE4E4FA FF015E1A
	v_mul_f32_dpp v115, v26, v115 row_newbcast:15 row_mask:0xf bank_mask:0xf// 000000008160: 0AE6E6FA FF015F1A
	v_mul_f32_dpp v116, v27, v116 row_newbcast:0 row_mask:0xf bank_mask:0xf// 000000008168: 0AE8E8FA FF01501B
	v_mul_f32_dpp v117, v27, v117 row_newbcast:1 row_mask:0xf bank_mask:0xf// 000000008170: 0AEAEAFA FF01511B
	v_mul_f32_dpp v118, v27, v118 row_newbcast:2 row_mask:0xf bank_mask:0xf// 000000008178: 0AECECFA FF01521B
	v_mul_f32_dpp v119, v27, v119 row_newbcast:3 row_mask:0xf bank_mask:0xf// 000000008180: 0AEEEEFA FF01531B
	v_mul_f32_dpp v120, v27, v120 row_newbcast:0 row_mask:0xf bank_mask:0xf// 000000008188: 0AF0F0FA FF01501B
	v_mul_f32_dpp v121, v27, v121 row_newbcast:1 row_mask:0xf bank_mask:0xf// 000000008190: 0AF2F2FA FF01511B
	v_mul_f32_dpp v122, v27, v122 row_newbcast:2 row_mask:0xf bank_mask:0xf// 000000008198: 0AF4F4FA FF01521B
	v_mul_f32_dpp v123, v27, v123 row_newbcast:3 row_mask:0xf bank_mask:0xf// 0000000081A0: 0AF6F6FA FF01531B
	v_mul_f32_dpp v124, v27, v124 row_newbcast:4 row_mask:0xf bank_mask:0xf// 0000000081A8: 0AF8F8FA FF01541B
	v_mul_f32_dpp v125, v27, v125 row_newbcast:5 row_mask:0xf bank_mask:0xf// 0000000081B0: 0AFAFAFA FF01551B
	v_mul_f32_dpp v126, v27, v126 row_newbcast:6 row_mask:0xf bank_mask:0xf// 0000000081B8: 0AFCFCFA FF01561B
	v_mul_f32_dpp v127, v27, v127 row_newbcast:7 row_mask:0xf bank_mask:0xf// 0000000081C0: 0AFEFEFA FF01571B
	v_mul_f32_dpp v128, v27, v128 row_newbcast:4 row_mask:0xf bank_mask:0xf// 0000000081C8: 0B0100FA FF01541B
	v_mul_f32_dpp v129, v27, v129 row_newbcast:5 row_mask:0xf bank_mask:0xf// 0000000081D0: 0B0302FA FF01551B
	v_mul_f32_dpp v130, v27, v130 row_newbcast:6 row_mask:0xf bank_mask:0xf// 0000000081D8: 0B0504FA FF01561B
	v_mul_f32_dpp v131, v27, v131 row_newbcast:7 row_mask:0xf bank_mask:0xf// 0000000081E0: 0B0706FA FF01571B
	v_mul_f32_dpp v132, v27, v132 row_newbcast:8 row_mask:0xf bank_mask:0xf// 0000000081E8: 0B0908FA FF01581B
	v_mul_f32_dpp v133, v27, v133 row_newbcast:9 row_mask:0xf bank_mask:0xf// 0000000081F0: 0B0B0AFA FF01591B
	v_mul_f32_dpp v134, v27, v134 row_newbcast:10 row_mask:0xf bank_mask:0xf// 0000000081F8: 0B0D0CFA FF015A1B
	v_mul_f32_dpp v135, v27, v135 row_newbcast:11 row_mask:0xf bank_mask:0xf// 000000008200: 0B0F0EFA FF015B1B
	v_mul_f32_dpp v136, v27, v136 row_newbcast:8 row_mask:0xf bank_mask:0xf// 000000008208: 0B1110FA FF01581B
	v_mul_f32_dpp v137, v27, v137 row_newbcast:9 row_mask:0xf bank_mask:0xf// 000000008210: 0B1312FA FF01591B
	v_mul_f32_dpp v138, v27, v138 row_newbcast:10 row_mask:0xf bank_mask:0xf// 000000008218: 0B1514FA FF015A1B
	v_mul_f32_dpp v139, v27, v139 row_newbcast:11 row_mask:0xf bank_mask:0xf// 000000008220: 0B1716FA FF015B1B
	v_mul_f32_dpp v140, v27, v140 row_newbcast:12 row_mask:0xf bank_mask:0xf// 000000008228: 0B1918FA FF015C1B
	v_mul_f32_dpp v141, v27, v141 row_newbcast:13 row_mask:0xf bank_mask:0xf// 000000008230: 0B1B1AFA FF015D1B
	v_mul_f32_dpp v142, v27, v142 row_newbcast:14 row_mask:0xf bank_mask:0xf// 000000008238: 0B1D1CFA FF015E1B
	v_mul_f32_dpp v143, v27, v143 row_newbcast:15 row_mask:0xf bank_mask:0xf// 000000008240: 0B1F1EFA FF015F1B
	v_mul_f32_dpp v144, v27, v144 row_newbcast:12 row_mask:0xf bank_mask:0xf// 000000008248: 0B2120FA FF015C1B
	v_mul_f32_dpp v145, v27, v145 row_newbcast:13 row_mask:0xf bank_mask:0xf// 000000008250: 0B2322FA FF015D1B
	v_mul_f32_dpp v146, v27, v146 row_newbcast:14 row_mask:0xf bank_mask:0xf// 000000008258: 0B2524FA FF015E1B
	v_mul_f32_dpp v147, v27, v147 row_newbcast:15 row_mask:0xf bank_mask:0xf// 000000008260: 0B2726FA FF015F1B
	v_mul_f32_dpp v148, v28, v148 row_newbcast:0 row_mask:0xf bank_mask:0xf// 000000008268: 0B2928FA FF01501C
	v_mul_f32_dpp v149, v28, v149 row_newbcast:1 row_mask:0xf bank_mask:0xf// 000000008270: 0B2B2AFA FF01511C
	v_mul_f32_dpp v150, v28, v150 row_newbcast:2 row_mask:0xf bank_mask:0xf// 000000008278: 0B2D2CFA FF01521C
	v_mul_f32_dpp v151, v28, v151 row_newbcast:3 row_mask:0xf bank_mask:0xf// 000000008280: 0B2F2EFA FF01531C
	v_mul_f32_dpp v152, v28, v152 row_newbcast:0 row_mask:0xf bank_mask:0xf// 000000008288: 0B3130FA FF01501C
	v_mul_f32_dpp v153, v28, v153 row_newbcast:1 row_mask:0xf bank_mask:0xf// 000000008290: 0B3332FA FF01511C
	v_mul_f32_dpp v154, v28, v154 row_newbcast:2 row_mask:0xf bank_mask:0xf// 000000008298: 0B3534FA FF01521C
	v_mul_f32_dpp v155, v28, v155 row_newbcast:3 row_mask:0xf bank_mask:0xf// 0000000082A0: 0B3736FA FF01531C
	v_mul_f32_dpp v156, v28, v156 row_newbcast:4 row_mask:0xf bank_mask:0xf// 0000000082A8: 0B3938FA FF01541C
	v_mul_f32_dpp v157, v28, v157 row_newbcast:5 row_mask:0xf bank_mask:0xf// 0000000082B0: 0B3B3AFA FF01551C
	v_mul_f32_dpp v158, v28, v158 row_newbcast:6 row_mask:0xf bank_mask:0xf// 0000000082B8: 0B3D3CFA FF01561C
	v_mul_f32_dpp v159, v28, v159 row_newbcast:7 row_mask:0xf bank_mask:0xf// 0000000082C0: 0B3F3EFA FF01571C
	v_mul_f32_dpp v160, v28, v160 row_newbcast:4 row_mask:0xf bank_mask:0xf// 0000000082C8: 0B4140FA FF01541C
	v_mul_f32_dpp v161, v28, v161 row_newbcast:5 row_mask:0xf bank_mask:0xf// 0000000082D0: 0B4342FA FF01551C
	v_mul_f32_dpp v162, v28, v162 row_newbcast:6 row_mask:0xf bank_mask:0xf// 0000000082D8: 0B4544FA FF01561C
	v_mul_f32_dpp v163, v28, v163 row_newbcast:7 row_mask:0xf bank_mask:0xf// 0000000082E0: 0B4746FA FF01571C
	v_mul_f32_dpp v164, v28, v164 row_newbcast:8 row_mask:0xf bank_mask:0xf// 0000000082E8: 0B4948FA FF01581C
	v_mul_f32_dpp v165, v28, v165 row_newbcast:9 row_mask:0xf bank_mask:0xf// 0000000082F0: 0B4B4AFA FF01591C
	v_mul_f32_dpp v166, v28, v166 row_newbcast:10 row_mask:0xf bank_mask:0xf// 0000000082F8: 0B4D4CFA FF015A1C
	v_mul_f32_dpp v167, v28, v167 row_newbcast:11 row_mask:0xf bank_mask:0xf// 000000008300: 0B4F4EFA FF015B1C
	v_mul_f32_dpp v168, v28, v168 row_newbcast:8 row_mask:0xf bank_mask:0xf// 000000008308: 0B5150FA FF01581C
	v_mul_f32_dpp v169, v28, v169 row_newbcast:9 row_mask:0xf bank_mask:0xf// 000000008310: 0B5352FA FF01591C
	v_mul_f32_dpp v170, v28, v170 row_newbcast:10 row_mask:0xf bank_mask:0xf// 000000008318: 0B5554FA FF015A1C
	v_mul_f32_dpp v171, v28, v171 row_newbcast:11 row_mask:0xf bank_mask:0xf// 000000008320: 0B5756FA FF015B1C
	v_mul_f32_dpp v172, v28, v172 row_newbcast:12 row_mask:0xf bank_mask:0xf// 000000008328: 0B5958FA FF015C1C
	v_mul_f32_dpp v173, v28, v173 row_newbcast:13 row_mask:0xf bank_mask:0xf// 000000008330: 0B5B5AFA FF015D1C
	v_mul_f32_dpp v174, v28, v174 row_newbcast:14 row_mask:0xf bank_mask:0xf// 000000008338: 0B5D5CFA FF015E1C
	v_mul_f32_dpp v175, v28, v175 row_newbcast:15 row_mask:0xf bank_mask:0xf// 000000008340: 0B5F5EFA FF015F1C
	v_mul_f32_dpp v176, v28, v176 row_newbcast:12 row_mask:0xf bank_mask:0xf// 000000008348: 0B6160FA FF015C1C
	v_mul_f32_dpp v177, v28, v177 row_newbcast:13 row_mask:0xf bank_mask:0xf// 000000008350: 0B6362FA FF015D1C
	v_mul_f32_dpp v178, v28, v178 row_newbcast:14 row_mask:0xf bank_mask:0xf// 000000008358: 0B6564FA FF015E1C
	v_mul_f32_dpp v179, v28, v179 row_newbcast:15 row_mask:0xf bank_mask:0xf// 000000008360: 0B6766FA FF015F1C
	v_mul_f32_e32 v31, v31, v180                               // 000000008368: 0A3F691F
	v_mov_b32_e32 v4, v31                                      // 00000000836C: 7E08031F
	v_mov_b32_e32 v5, v4                                       // 000000008370: 7E0A0304
	v_pk_mul_f32 v[52:53], v[4:5], v[52:53]                    // 000000008374: D3B14034 18026904
	v_pk_mul_f32 v[116:117], v[4:5], v[116:117]                // 00000000837C: D3B14074 1802E904
	v_pk_mul_f32 v[54:55], v[4:5], v[54:55]                    // 000000008384: D3B14036 18026D04
	v_pk_mul_f32 v[118:119], v[4:5], v[118:119]                // 00000000838C: D3B14076 1802ED04
	v_pk_mul_f32 v[60:61], v[4:5], v[60:61]                    // 000000008394: D3B1403C 18027904
	v_pk_mul_f32 v[124:125], v[4:5], v[124:125]                // 00000000839C: D3B1407C 1802F904
	v_pk_mul_f32 v[62:63], v[4:5], v[62:63]                    // 0000000083A4: D3B1403E 18027D04
	v_pk_mul_f32 v[126:127], v[4:5], v[126:127]                // 0000000083AC: D3B1407E 1802FD04
	v_pk_mul_f32 v[68:69], v[4:5], v[68:69]                    // 0000000083B4: D3B14044 18028904
	v_pk_mul_f32 v[132:133], v[4:5], v[132:133]                // 0000000083BC: D3B14084 18030904
	v_pk_mul_f32 v[70:71], v[4:5], v[70:71]                    // 0000000083C4: D3B14046 18028D04
	v_pk_mul_f32 v[134:135], v[4:5], v[134:135]                // 0000000083CC: D3B14086 18030D04
	v_pk_mul_f32 v[76:77], v[4:5], v[76:77]                    // 0000000083D4: D3B1404C 18029904
	v_pk_mul_f32 v[140:141], v[4:5], v[140:141]                // 0000000083DC: D3B1408C 18031904
	v_pk_mul_f32 v[78:79], v[4:5], v[78:79]                    // 0000000083E4: D3B1404E 18029D04
	v_pk_mul_f32 v[142:143], v[4:5], v[142:143]                // 0000000083EC: D3B1408E 18031D04
	v_pk_mul_f32 v[84:85], v[4:5], v[84:85]                    // 0000000083F4: D3B14054 1802A904
	v_pk_mul_f32 v[148:149], v[4:5], v[148:149]                // 0000000083FC: D3B14094 18032904
	v_pk_mul_f32 v[86:87], v[4:5], v[86:87]                    // 000000008404: D3B14056 1802AD04
	v_pk_mul_f32 v[150:151], v[4:5], v[150:151]                // 00000000840C: D3B14096 18032D04
	v_pk_mul_f32 v[92:93], v[4:5], v[92:93]                    // 000000008414: D3B1405C 1802B904
	v_pk_mul_f32 v[156:157], v[4:5], v[156:157]                // 00000000841C: D3B1409C 18033904
	v_pk_mul_f32 v[94:95], v[4:5], v[94:95]                    // 000000008424: D3B1405E 1802BD04
	v_pk_mul_f32 v[158:159], v[4:5], v[158:159]                // 00000000842C: D3B1409E 18033D04
	v_pk_mul_f32 v[100:101], v[4:5], v[100:101]                // 000000008434: D3B14064 1802C904
	v_pk_mul_f32 v[164:165], v[4:5], v[164:165]                // 00000000843C: D3B140A4 18034904
	v_pk_mul_f32 v[102:103], v[4:5], v[102:103]                // 000000008444: D3B14066 1802CD04
	v_pk_mul_f32 v[166:167], v[4:5], v[166:167]                // 00000000844C: D3B140A6 18034D04
	v_pk_mul_f32 v[108:109], v[4:5], v[108:109]                // 000000008454: D3B1406C 1802D904
	v_pk_mul_f32 v[172:173], v[4:5], v[172:173]                // 00000000845C: D3B140AC 18035904
	v_pk_mul_f32 v[110:111], v[4:5], v[110:111]                // 000000008464: D3B1406E 1802DD04
	v_pk_mul_f32 v[174:175], v[4:5], v[174:175]                // 00000000846C: D3B140AE 18035D04
	v_mul_f32_e32 v32, v32, v181                               // 000000008474: 0A416B20
	v_mov_b32_e32 v4, v32                                      // 000000008478: 7E080320
	v_mov_b32_e32 v5, v4                                       // 00000000847C: 7E0A0304
	v_pk_mul_f32 v[56:57], v[4:5], v[56:57]                    // 000000008480: D3B14038 18027104
	v_pk_mul_f32 v[120:121], v[4:5], v[120:121]                // 000000008488: D3B14078 1802F104
	v_pk_mul_f32 v[58:59], v[4:5], v[58:59]                    // 000000008490: D3B1403A 18027504
	v_pk_mul_f32 v[122:123], v[4:5], v[122:123]                // 000000008498: D3B1407A 1802F504
	v_pk_mul_f32 v[64:65], v[4:5], v[64:65]                    // 0000000084A0: D3B14040 18028104
	v_pk_mul_f32 v[128:129], v[4:5], v[128:129]                // 0000000084A8: D3B14080 18030104
	v_pk_mul_f32 v[66:67], v[4:5], v[66:67]                    // 0000000084B0: D3B14042 18028504
	v_pk_mul_f32 v[130:131], v[4:5], v[130:131]                // 0000000084B8: D3B14082 18030504
	v_pk_mul_f32 v[72:73], v[4:5], v[72:73]                    // 0000000084C0: D3B14048 18029104
	v_pk_mul_f32 v[136:137], v[4:5], v[136:137]                // 0000000084C8: D3B14088 18031104
	v_pk_mul_f32 v[74:75], v[4:5], v[74:75]                    // 0000000084D0: D3B1404A 18029504
	v_pk_mul_f32 v[138:139], v[4:5], v[138:139]                // 0000000084D8: D3B1408A 18031504
	v_pk_mul_f32 v[80:81], v[4:5], v[80:81]                    // 0000000084E0: D3B14050 1802A104
	v_pk_mul_f32 v[144:145], v[4:5], v[144:145]                // 0000000084E8: D3B14090 18032104
	v_pk_mul_f32 v[82:83], v[4:5], v[82:83]                    // 0000000084F0: D3B14052 1802A504
	v_pk_mul_f32 v[146:147], v[4:5], v[146:147]                // 0000000084F8: D3B14092 18032504
	v_pk_mul_f32 v[88:89], v[4:5], v[88:89]                    // 000000008500: D3B14058 1802B104
	v_pk_mul_f32 v[152:153], v[4:5], v[152:153]                // 000000008508: D3B14098 18033104
	v_pk_mul_f32 v[90:91], v[4:5], v[90:91]                    // 000000008510: D3B1405A 1802B504
	v_pk_mul_f32 v[154:155], v[4:5], v[154:155]                // 000000008518: D3B1409A 18033504
	v_pk_mul_f32 v[96:97], v[4:5], v[96:97]                    // 000000008520: D3B14060 1802C104
	v_pk_mul_f32 v[160:161], v[4:5], v[160:161]                // 000000008528: D3B140A0 18034104
	v_pk_mul_f32 v[98:99], v[4:5], v[98:99]                    // 000000008530: D3B14062 1802C504
	v_pk_mul_f32 v[162:163], v[4:5], v[162:163]                // 000000008538: D3B140A2 18034504
	v_pk_mul_f32 v[104:105], v[4:5], v[104:105]                // 000000008540: D3B14068 1802D104
	v_pk_mul_f32 v[168:169], v[4:5], v[168:169]                // 000000008548: D3B140A8 18035104
	v_pk_mul_f32 v[106:107], v[4:5], v[106:107]                // 000000008550: D3B1406A 1802D504
	v_pk_mul_f32 v[170:171], v[4:5], v[170:171]                // 000000008558: D3B140AA 18035504
	v_pk_mul_f32 v[112:113], v[4:5], v[112:113]                // 000000008560: D3B14070 1802E104
	v_pk_mul_f32 v[176:177], v[4:5], v[176:177]                // 000000008568: D3B140B0 18036104
	v_pk_mul_f32 v[114:115], v[4:5], v[114:115]                // 000000008570: D3B14072 1802E504
	v_pk_mul_f32 v[178:179], v[4:5], v[178:179]                // 000000008578: D3B140B2 18036504
	s_cmp_eq_u32 s88, 0                                        // 000000008580: BF068058
	s_cbranch_scc0 label_1E7E                                  // 000000008584: BF840799
	s_cmp_eq_u32 s89, 0                                        // 000000008588: BF068059
	s_cbranch_scc1 label_196C                                  // 00000000858C: BF850285
	v_mov_b32_e32 v8, v1                                       // 000000008590: 7E100301
	v_mov_b32_e32 v9, v1                                       // 000000008594: 7E120301
	s_mov_b32 s60, s6                                          // 000000008598: BEBC0006
	s_mov_b32 s61, s6                                          // 00000000859C: BEBD0006
	v_pk_mul_f32 v[4:5], v[52:53], v[52:53]                    // 0000000085A0: D3B14004 18026934
	v_pk_mul_f32 v[6:7], v[54:55], v[54:55]                    // 0000000085A8: D3B14006 18026D36
	v_pk_fma_f32 v[4:5], v[4:5], s[78:79], v[8:9]              // 0000000085B0: D3B04004 1C209D04
	v_pk_fma_f32 v[6:7], v[6:7], s[78:79], v[8:9]              // 0000000085B8: D3B04006 1C209D06
	v_pk_mul_f32 v[4:5], v[4:5], v[52:53]                      // 0000000085C0: D3B14004 18026904
	v_pk_mul_f32 v[6:7], v[6:7], v[54:55]                      // 0000000085C8: D3B14006 18026D06
	v_pk_mul_f32 v[4:5], v[4:5], s[60:61]                      // 0000000085D0: D3B14004 18007904
	v_pk_mul_f32 v[6:7], v[6:7], s[60:61]                      // 0000000085D8: D3B14006 18007906
	v_exp_f32_e32 v4, v4                                       // 0000000085E0: 7E084104
	v_exp_f32_e32 v5, v5                                       // 0000000085E4: 7E0A4105
	v_exp_f32_e32 v6, v6                                       // 0000000085E8: 7E0C4106
	v_exp_f32_e32 v7, v7                                       // 0000000085EC: 7E0E4107
	v_add_f32_e64 v4, v4, 1.0                                  // 0000000085F0: D1010004 0001E504
	v_add_f32_e64 v5, v5, 1.0                                  // 0000000085F8: D1010005 0001E505
	v_add_f32_e64 v6, v6, 1.0                                  // 000000008600: D1010006 0001E506
	v_add_f32_e64 v7, v7, 1.0                                  // 000000008608: D1010007 0001E507
	v_rcp_f32_e32 v4, v4                                       // 000000008610: 7E084504
	v_rcp_f32_e32 v5, v5                                       // 000000008614: 7E0A4505
	v_rcp_f32_e32 v6, v6                                       // 000000008618: 7E0C4506
	v_rcp_f32_e32 v7, v7                                       // 00000000861C: 7E0E4507
	v_mul_f32_e32 v52, v52, v4                                 // 000000008620: 0A680934
	v_mul_f32_e32 v53, v53, v5                                 // 000000008624: 0A6A0B35
	v_mul_f32_e32 v54, v54, v6                                 // 000000008628: 0A6C0D36
	v_mul_f32_e32 v55, v55, v7                                 // 00000000862C: 0A6E0F37
	v_mul_f32_e32 v52, v52, v116                               // 000000008630: 0A68E934
	v_mul_f32_e32 v53, v53, v117                               // 000000008634: 0A6AEB35
	v_mul_f32_e32 v54, v54, v118                               // 000000008638: 0A6CED36
	v_mul_f32_e32 v55, v55, v119                               // 00000000863C: 0A6EEF37
	v_pk_mul_f32 v[4:5], v[56:57], v[56:57]                    // 000000008640: D3B14004 18027138
	v_pk_mul_f32 v[6:7], v[58:59], v[58:59]                    // 000000008648: D3B14006 1802753A
	v_pk_fma_f32 v[4:5], v[4:5], s[78:79], v[8:9]              // 000000008650: D3B04004 1C209D04
	v_pk_fma_f32 v[6:7], v[6:7], s[78:79], v[8:9]              // 000000008658: D3B04006 1C209D06
	v_pk_mul_f32 v[4:5], v[4:5], v[56:57]                      // 000000008660: D3B14004 18027104
	v_pk_mul_f32 v[6:7], v[6:7], v[58:59]                      // 000000008668: D3B14006 18027506
	v_pk_mul_f32 v[4:5], v[4:5], s[60:61]                      // 000000008670: D3B14004 18007904
	v_pk_mul_f32 v[6:7], v[6:7], s[60:61]                      // 000000008678: D3B14006 18007906
	v_exp_f32_e32 v4, v4                                       // 000000008680: 7E084104
	v_exp_f32_e32 v5, v5                                       // 000000008684: 7E0A4105
	v_exp_f32_e32 v6, v6                                       // 000000008688: 7E0C4106
	v_exp_f32_e32 v7, v7                                       // 00000000868C: 7E0E4107
	v_add_f32_e64 v4, v4, 1.0                                  // 000000008690: D1010004 0001E504
	v_add_f32_e64 v5, v5, 1.0                                  // 000000008698: D1010005 0001E505
	v_add_f32_e64 v6, v6, 1.0                                  // 0000000086A0: D1010006 0001E506
	v_add_f32_e64 v7, v7, 1.0                                  // 0000000086A8: D1010007 0001E507
	v_rcp_f32_e32 v4, v4                                       // 0000000086B0: 7E084504
	v_rcp_f32_e32 v5, v5                                       // 0000000086B4: 7E0A4505
	v_rcp_f32_e32 v6, v6                                       // 0000000086B8: 7E0C4506
	v_rcp_f32_e32 v7, v7                                       // 0000000086BC: 7E0E4507
	v_mul_f32_e32 v56, v56, v4                                 // 0000000086C0: 0A700938
	v_mul_f32_e32 v57, v57, v5                                 // 0000000086C4: 0A720B39
	v_mul_f32_e32 v58, v58, v6                                 // 0000000086C8: 0A740D3A
	v_mul_f32_e32 v59, v59, v7                                 // 0000000086CC: 0A760F3B
	v_mul_f32_e32 v56, v56, v120                               // 0000000086D0: 0A70F138
	v_mul_f32_e32 v57, v57, v121                               // 0000000086D4: 0A72F339
	v_mul_f32_e32 v58, v58, v122                               // 0000000086D8: 0A74F53A
	v_mul_f32_e32 v59, v59, v123                               // 0000000086DC: 0A76F73B
	v_pk_mul_f32 v[4:5], v[60:61], v[60:61]                    // 0000000086E0: D3B14004 1802793C
	v_pk_mul_f32 v[6:7], v[62:63], v[62:63]                    // 0000000086E8: D3B14006 18027D3E
	v_pk_fma_f32 v[4:5], v[4:5], s[78:79], v[8:9]              // 0000000086F0: D3B04004 1C209D04
	v_pk_fma_f32 v[6:7], v[6:7], s[78:79], v[8:9]              // 0000000086F8: D3B04006 1C209D06
	v_pk_mul_f32 v[4:5], v[4:5], v[60:61]                      // 000000008700: D3B14004 18027904
	v_pk_mul_f32 v[6:7], v[6:7], v[62:63]                      // 000000008708: D3B14006 18027D06
	v_pk_mul_f32 v[4:5], v[4:5], s[60:61]                      // 000000008710: D3B14004 18007904
	v_pk_mul_f32 v[6:7], v[6:7], s[60:61]                      // 000000008718: D3B14006 18007906
	v_exp_f32_e32 v4, v4                                       // 000000008720: 7E084104
	v_exp_f32_e32 v5, v5                                       // 000000008724: 7E0A4105
	v_exp_f32_e32 v6, v6                                       // 000000008728: 7E0C4106
	v_exp_f32_e32 v7, v7                                       // 00000000872C: 7E0E4107
	v_add_f32_e64 v4, v4, 1.0                                  // 000000008730: D1010004 0001E504
	v_add_f32_e64 v5, v5, 1.0                                  // 000000008738: D1010005 0001E505
	v_add_f32_e64 v6, v6, 1.0                                  // 000000008740: D1010006 0001E506
	v_add_f32_e64 v7, v7, 1.0                                  // 000000008748: D1010007 0001E507
	v_rcp_f32_e32 v4, v4                                       // 000000008750: 7E084504
	v_rcp_f32_e32 v5, v5                                       // 000000008754: 7E0A4505
	v_rcp_f32_e32 v6, v6                                       // 000000008758: 7E0C4506
	v_rcp_f32_e32 v7, v7                                       // 00000000875C: 7E0E4507
	v_mul_f32_e32 v60, v60, v4                                 // 000000008760: 0A78093C
	v_mul_f32_e32 v61, v61, v5                                 // 000000008764: 0A7A0B3D
	v_mul_f32_e32 v62, v62, v6                                 // 000000008768: 0A7C0D3E
	v_mul_f32_e32 v63, v63, v7                                 // 00000000876C: 0A7E0F3F
	v_mul_f32_e32 v60, v60, v124                               // 000000008770: 0A78F93C
	v_mul_f32_e32 v61, v61, v125                               // 000000008774: 0A7AFB3D
	v_mul_f32_e32 v62, v62, v126                               // 000000008778: 0A7CFD3E
	v_mul_f32_e32 v63, v63, v127                               // 00000000877C: 0A7EFF3F
	v_pk_mul_f32 v[4:5], v[64:65], v[64:65]                    // 000000008780: D3B14004 18028140
	v_pk_mul_f32 v[6:7], v[66:67], v[66:67]                    // 000000008788: D3B14006 18028542
	v_pk_fma_f32 v[4:5], v[4:5], s[78:79], v[8:9]              // 000000008790: D3B04004 1C209D04
	v_pk_fma_f32 v[6:7], v[6:7], s[78:79], v[8:9]              // 000000008798: D3B04006 1C209D06
	v_pk_mul_f32 v[4:5], v[4:5], v[64:65]                      // 0000000087A0: D3B14004 18028104
	v_pk_mul_f32 v[6:7], v[6:7], v[66:67]                      // 0000000087A8: D3B14006 18028506
	v_pk_mul_f32 v[4:5], v[4:5], s[60:61]                      // 0000000087B0: D3B14004 18007904
	v_pk_mul_f32 v[6:7], v[6:7], s[60:61]                      // 0000000087B8: D3B14006 18007906
	v_exp_f32_e32 v4, v4                                       // 0000000087C0: 7E084104
	v_exp_f32_e32 v5, v5                                       // 0000000087C4: 7E0A4105
	v_exp_f32_e32 v6, v6                                       // 0000000087C8: 7E0C4106
	v_exp_f32_e32 v7, v7                                       // 0000000087CC: 7E0E4107
	v_add_f32_e64 v4, v4, 1.0                                  // 0000000087D0: D1010004 0001E504
	v_add_f32_e64 v5, v5, 1.0                                  // 0000000087D8: D1010005 0001E505
	v_add_f32_e64 v6, v6, 1.0                                  // 0000000087E0: D1010006 0001E506
	v_add_f32_e64 v7, v7, 1.0                                  // 0000000087E8: D1010007 0001E507
	v_rcp_f32_e32 v4, v4                                       // 0000000087F0: 7E084504
	v_rcp_f32_e32 v5, v5                                       // 0000000087F4: 7E0A4505
	v_rcp_f32_e32 v6, v6                                       // 0000000087F8: 7E0C4506
	v_rcp_f32_e32 v7, v7                                       // 0000000087FC: 7E0E4507
	v_mul_f32_e32 v64, v64, v4                                 // 000000008800: 0A800940
	v_mul_f32_e32 v65, v65, v5                                 // 000000008804: 0A820B41
	v_mul_f32_e32 v66, v66, v6                                 // 000000008808: 0A840D42
	v_mul_f32_e32 v67, v67, v7                                 // 00000000880C: 0A860F43
	v_mul_f32_e32 v64, v64, v128                               // 000000008810: 0A810140
	v_mul_f32_e32 v65, v65, v129                               // 000000008814: 0A830341
	v_mul_f32_e32 v66, v66, v130                               // 000000008818: 0A850542
	v_mul_f32_e32 v67, v67, v131                               // 00000000881C: 0A870743
	v_pk_mul_f32 v[4:5], v[68:69], v[68:69]                    // 000000008820: D3B14004 18028944
	v_pk_mul_f32 v[6:7], v[70:71], v[70:71]                    // 000000008828: D3B14006 18028D46
	v_pk_fma_f32 v[4:5], v[4:5], s[78:79], v[8:9]              // 000000008830: D3B04004 1C209D04
	v_pk_fma_f32 v[6:7], v[6:7], s[78:79], v[8:9]              // 000000008838: D3B04006 1C209D06
	v_pk_mul_f32 v[4:5], v[4:5], v[68:69]                      // 000000008840: D3B14004 18028904
	v_pk_mul_f32 v[6:7], v[6:7], v[70:71]                      // 000000008848: D3B14006 18028D06
	v_pk_mul_f32 v[4:5], v[4:5], s[60:61]                      // 000000008850: D3B14004 18007904
	v_pk_mul_f32 v[6:7], v[6:7], s[60:61]                      // 000000008858: D3B14006 18007906
	v_exp_f32_e32 v4, v4                                       // 000000008860: 7E084104
	v_exp_f32_e32 v5, v5                                       // 000000008864: 7E0A4105
	v_exp_f32_e32 v6, v6                                       // 000000008868: 7E0C4106
	v_exp_f32_e32 v7, v7                                       // 00000000886C: 7E0E4107
	v_add_f32_e64 v4, v4, 1.0                                  // 000000008870: D1010004 0001E504
	v_add_f32_e64 v5, v5, 1.0                                  // 000000008878: D1010005 0001E505
	v_add_f32_e64 v6, v6, 1.0                                  // 000000008880: D1010006 0001E506
	v_add_f32_e64 v7, v7, 1.0                                  // 000000008888: D1010007 0001E507
	v_rcp_f32_e32 v4, v4                                       // 000000008890: 7E084504
	v_rcp_f32_e32 v5, v5                                       // 000000008894: 7E0A4505
	v_rcp_f32_e32 v6, v6                                       // 000000008898: 7E0C4506
	v_rcp_f32_e32 v7, v7                                       // 00000000889C: 7E0E4507
	v_mul_f32_e32 v68, v68, v4                                 // 0000000088A0: 0A880944
	v_mul_f32_e32 v69, v69, v5                                 // 0000000088A4: 0A8A0B45
	v_mul_f32_e32 v70, v70, v6                                 // 0000000088A8: 0A8C0D46
	v_mul_f32_e32 v71, v71, v7                                 // 0000000088AC: 0A8E0F47
	v_mul_f32_e32 v68, v68, v132                               // 0000000088B0: 0A890944
	v_mul_f32_e32 v69, v69, v133                               // 0000000088B4: 0A8B0B45
	v_mul_f32_e32 v70, v70, v134                               // 0000000088B8: 0A8D0D46
	v_mul_f32_e32 v71, v71, v135                               // 0000000088BC: 0A8F0F47
	v_pk_mul_f32 v[4:5], v[72:73], v[72:73]                    // 0000000088C0: D3B14004 18029148
	v_pk_mul_f32 v[6:7], v[74:75], v[74:75]                    // 0000000088C8: D3B14006 1802954A
	v_pk_fma_f32 v[4:5], v[4:5], s[78:79], v[8:9]              // 0000000088D0: D3B04004 1C209D04
	v_pk_fma_f32 v[6:7], v[6:7], s[78:79], v[8:9]              // 0000000088D8: D3B04006 1C209D06
	v_pk_mul_f32 v[4:5], v[4:5], v[72:73]                      // 0000000088E0: D3B14004 18029104
	v_pk_mul_f32 v[6:7], v[6:7], v[74:75]                      // 0000000088E8: D3B14006 18029506
	v_pk_mul_f32 v[4:5], v[4:5], s[60:61]                      // 0000000088F0: D3B14004 18007904
	v_pk_mul_f32 v[6:7], v[6:7], s[60:61]                      // 0000000088F8: D3B14006 18007906
	v_exp_f32_e32 v4, v4                                       // 000000008900: 7E084104
	v_exp_f32_e32 v5, v5                                       // 000000008904: 7E0A4105
	v_exp_f32_e32 v6, v6                                       // 000000008908: 7E0C4106
	v_exp_f32_e32 v7, v7                                       // 00000000890C: 7E0E4107
	v_add_f32_e64 v4, v4, 1.0                                  // 000000008910: D1010004 0001E504
	v_add_f32_e64 v5, v5, 1.0                                  // 000000008918: D1010005 0001E505
	v_add_f32_e64 v6, v6, 1.0                                  // 000000008920: D1010006 0001E506
	v_add_f32_e64 v7, v7, 1.0                                  // 000000008928: D1010007 0001E507
	v_rcp_f32_e32 v4, v4                                       // 000000008930: 7E084504
	v_rcp_f32_e32 v5, v5                                       // 000000008934: 7E0A4505
	v_rcp_f32_e32 v6, v6                                       // 000000008938: 7E0C4506
	v_rcp_f32_e32 v7, v7                                       // 00000000893C: 7E0E4507
	v_mul_f32_e32 v72, v72, v4                                 // 000000008940: 0A900948
	v_mul_f32_e32 v73, v73, v5                                 // 000000008944: 0A920B49
	v_mul_f32_e32 v74, v74, v6                                 // 000000008948: 0A940D4A
	v_mul_f32_e32 v75, v75, v7                                 // 00000000894C: 0A960F4B
	v_mul_f32_e32 v72, v72, v136                               // 000000008950: 0A911148
	v_mul_f32_e32 v73, v73, v137                               // 000000008954: 0A931349
	v_mul_f32_e32 v74, v74, v138                               // 000000008958: 0A95154A
	v_mul_f32_e32 v75, v75, v139                               // 00000000895C: 0A97174B
	v_pk_mul_f32 v[4:5], v[76:77], v[76:77]                    // 000000008960: D3B14004 1802994C
	v_pk_mul_f32 v[6:7], v[78:79], v[78:79]                    // 000000008968: D3B14006 18029D4E
	v_pk_fma_f32 v[4:5], v[4:5], s[78:79], v[8:9]              // 000000008970: D3B04004 1C209D04
	v_pk_fma_f32 v[6:7], v[6:7], s[78:79], v[8:9]              // 000000008978: D3B04006 1C209D06
	v_pk_mul_f32 v[4:5], v[4:5], v[76:77]                      // 000000008980: D3B14004 18029904
	v_pk_mul_f32 v[6:7], v[6:7], v[78:79]                      // 000000008988: D3B14006 18029D06
	v_pk_mul_f32 v[4:5], v[4:5], s[60:61]                      // 000000008990: D3B14004 18007904
	v_pk_mul_f32 v[6:7], v[6:7], s[60:61]                      // 000000008998: D3B14006 18007906
	v_exp_f32_e32 v4, v4                                       // 0000000089A0: 7E084104
	v_exp_f32_e32 v5, v5                                       // 0000000089A4: 7E0A4105
	v_exp_f32_e32 v6, v6                                       // 0000000089A8: 7E0C4106
	v_exp_f32_e32 v7, v7                                       // 0000000089AC: 7E0E4107
	v_add_f32_e64 v4, v4, 1.0                                  // 0000000089B0: D1010004 0001E504
	v_add_f32_e64 v5, v5, 1.0                                  // 0000000089B8: D1010005 0001E505
	v_add_f32_e64 v6, v6, 1.0                                  // 0000000089C0: D1010006 0001E506
	v_add_f32_e64 v7, v7, 1.0                                  // 0000000089C8: D1010007 0001E507
	v_rcp_f32_e32 v4, v4                                       // 0000000089D0: 7E084504
	v_rcp_f32_e32 v5, v5                                       // 0000000089D4: 7E0A4505
	v_rcp_f32_e32 v6, v6                                       // 0000000089D8: 7E0C4506
	v_rcp_f32_e32 v7, v7                                       // 0000000089DC: 7E0E4507
	v_mul_f32_e32 v76, v76, v4                                 // 0000000089E0: 0A98094C
	v_mul_f32_e32 v77, v77, v5                                 // 0000000089E4: 0A9A0B4D
	v_mul_f32_e32 v78, v78, v6                                 // 0000000089E8: 0A9C0D4E
	v_mul_f32_e32 v79, v79, v7                                 // 0000000089EC: 0A9E0F4F
	v_mul_f32_e32 v76, v76, v140                               // 0000000089F0: 0A99194C
	v_mul_f32_e32 v77, v77, v141                               // 0000000089F4: 0A9B1B4D
	v_mul_f32_e32 v78, v78, v142                               // 0000000089F8: 0A9D1D4E
	v_mul_f32_e32 v79, v79, v143                               // 0000000089FC: 0A9F1F4F
	v_pk_mul_f32 v[4:5], v[80:81], v[80:81]                    // 000000008A00: D3B14004 1802A150
	v_pk_mul_f32 v[6:7], v[82:83], v[82:83]                    // 000000008A08: D3B14006 1802A552
	v_pk_fma_f32 v[4:5], v[4:5], s[78:79], v[8:9]              // 000000008A10: D3B04004 1C209D04
	v_pk_fma_f32 v[6:7], v[6:7], s[78:79], v[8:9]              // 000000008A18: D3B04006 1C209D06
	v_pk_mul_f32 v[4:5], v[4:5], v[80:81]                      // 000000008A20: D3B14004 1802A104
	v_pk_mul_f32 v[6:7], v[6:7], v[82:83]                      // 000000008A28: D3B14006 1802A506
	v_pk_mul_f32 v[4:5], v[4:5], s[60:61]                      // 000000008A30: D3B14004 18007904
	v_pk_mul_f32 v[6:7], v[6:7], s[60:61]                      // 000000008A38: D3B14006 18007906
	v_exp_f32_e32 v4, v4                                       // 000000008A40: 7E084104
	v_exp_f32_e32 v5, v5                                       // 000000008A44: 7E0A4105
	v_exp_f32_e32 v6, v6                                       // 000000008A48: 7E0C4106
	v_exp_f32_e32 v7, v7                                       // 000000008A4C: 7E0E4107
	v_add_f32_e64 v4, v4, 1.0                                  // 000000008A50: D1010004 0001E504
	v_add_f32_e64 v5, v5, 1.0                                  // 000000008A58: D1010005 0001E505
	v_add_f32_e64 v6, v6, 1.0                                  // 000000008A60: D1010006 0001E506
	v_add_f32_e64 v7, v7, 1.0                                  // 000000008A68: D1010007 0001E507
	v_rcp_f32_e32 v4, v4                                       // 000000008A70: 7E084504
	v_rcp_f32_e32 v5, v5                                       // 000000008A74: 7E0A4505
	v_rcp_f32_e32 v6, v6                                       // 000000008A78: 7E0C4506
	v_rcp_f32_e32 v7, v7                                       // 000000008A7C: 7E0E4507
	v_mul_f32_e32 v80, v80, v4                                 // 000000008A80: 0AA00950
	v_mul_f32_e32 v81, v81, v5                                 // 000000008A84: 0AA20B51
	v_mul_f32_e32 v82, v82, v6                                 // 000000008A88: 0AA40D52
	v_mul_f32_e32 v83, v83, v7                                 // 000000008A8C: 0AA60F53
	v_mul_f32_e32 v80, v80, v144                               // 000000008A90: 0AA12150
	v_mul_f32_e32 v81, v81, v145                               // 000000008A94: 0AA32351
	v_mul_f32_e32 v82, v82, v146                               // 000000008A98: 0AA52552
	v_mul_f32_e32 v83, v83, v147                               // 000000008A9C: 0AA72753
	v_pk_mul_f32 v[4:5], v[84:85], v[84:85]                    // 000000008AA0: D3B14004 1802A954
	v_pk_mul_f32 v[6:7], v[86:87], v[86:87]                    // 000000008AA8: D3B14006 1802AD56
	v_pk_fma_f32 v[4:5], v[4:5], s[78:79], v[8:9]              // 000000008AB0: D3B04004 1C209D04
	v_pk_fma_f32 v[6:7], v[6:7], s[78:79], v[8:9]              // 000000008AB8: D3B04006 1C209D06
	v_pk_mul_f32 v[4:5], v[4:5], v[84:85]                      // 000000008AC0: D3B14004 1802A904
	v_pk_mul_f32 v[6:7], v[6:7], v[86:87]                      // 000000008AC8: D3B14006 1802AD06
	v_pk_mul_f32 v[4:5], v[4:5], s[60:61]                      // 000000008AD0: D3B14004 18007904
	v_pk_mul_f32 v[6:7], v[6:7], s[60:61]                      // 000000008AD8: D3B14006 18007906
	v_exp_f32_e32 v4, v4                                       // 000000008AE0: 7E084104
	v_exp_f32_e32 v5, v5                                       // 000000008AE4: 7E0A4105
	v_exp_f32_e32 v6, v6                                       // 000000008AE8: 7E0C4106
	v_exp_f32_e32 v7, v7                                       // 000000008AEC: 7E0E4107
	v_add_f32_e64 v4, v4, 1.0                                  // 000000008AF0: D1010004 0001E504
	v_add_f32_e64 v5, v5, 1.0                                  // 000000008AF8: D1010005 0001E505
	v_add_f32_e64 v6, v6, 1.0                                  // 000000008B00: D1010006 0001E506
	v_add_f32_e64 v7, v7, 1.0                                  // 000000008B08: D1010007 0001E507
	v_rcp_f32_e32 v4, v4                                       // 000000008B10: 7E084504
	v_rcp_f32_e32 v5, v5                                       // 000000008B14: 7E0A4505
	v_rcp_f32_e32 v6, v6                                       // 000000008B18: 7E0C4506
	v_rcp_f32_e32 v7, v7                                       // 000000008B1C: 7E0E4507
	v_mul_f32_e32 v84, v84, v4                                 // 000000008B20: 0AA80954
	v_mul_f32_e32 v85, v85, v5                                 // 000000008B24: 0AAA0B55
	v_mul_f32_e32 v86, v86, v6                                 // 000000008B28: 0AAC0D56
	v_mul_f32_e32 v87, v87, v7                                 // 000000008B2C: 0AAE0F57
	v_mul_f32_e32 v84, v84, v148                               // 000000008B30: 0AA92954
	v_mul_f32_e32 v85, v85, v149                               // 000000008B34: 0AAB2B55
	v_mul_f32_e32 v86, v86, v150                               // 000000008B38: 0AAD2D56
	v_mul_f32_e32 v87, v87, v151                               // 000000008B3C: 0AAF2F57
	v_pk_mul_f32 v[4:5], v[88:89], v[88:89]                    // 000000008B40: D3B14004 1802B158
	v_pk_mul_f32 v[6:7], v[90:91], v[90:91]                    // 000000008B48: D3B14006 1802B55A
	v_pk_fma_f32 v[4:5], v[4:5], s[78:79], v[8:9]              // 000000008B50: D3B04004 1C209D04
	v_pk_fma_f32 v[6:7], v[6:7], s[78:79], v[8:9]              // 000000008B58: D3B04006 1C209D06
	v_pk_mul_f32 v[4:5], v[4:5], v[88:89]                      // 000000008B60: D3B14004 1802B104
	v_pk_mul_f32 v[6:7], v[6:7], v[90:91]                      // 000000008B68: D3B14006 1802B506
	v_pk_mul_f32 v[4:5], v[4:5], s[60:61]                      // 000000008B70: D3B14004 18007904
	v_pk_mul_f32 v[6:7], v[6:7], s[60:61]                      // 000000008B78: D3B14006 18007906
	v_exp_f32_e32 v4, v4                                       // 000000008B80: 7E084104
	v_exp_f32_e32 v5, v5                                       // 000000008B84: 7E0A4105
	v_exp_f32_e32 v6, v6                                       // 000000008B88: 7E0C4106
	v_exp_f32_e32 v7, v7                                       // 000000008B8C: 7E0E4107
	v_add_f32_e64 v4, v4, 1.0                                  // 000000008B90: D1010004 0001E504
	v_add_f32_e64 v5, v5, 1.0                                  // 000000008B98: D1010005 0001E505
	v_add_f32_e64 v6, v6, 1.0                                  // 000000008BA0: D1010006 0001E506
	v_add_f32_e64 v7, v7, 1.0                                  // 000000008BA8: D1010007 0001E507
	v_rcp_f32_e32 v4, v4                                       // 000000008BB0: 7E084504
	v_rcp_f32_e32 v5, v5                                       // 000000008BB4: 7E0A4505
	v_rcp_f32_e32 v6, v6                                       // 000000008BB8: 7E0C4506
	v_rcp_f32_e32 v7, v7                                       // 000000008BBC: 7E0E4507
	v_mul_f32_e32 v88, v88, v4                                 // 000000008BC0: 0AB00958
	v_mul_f32_e32 v89, v89, v5                                 // 000000008BC4: 0AB20B59
	v_mul_f32_e32 v90, v90, v6                                 // 000000008BC8: 0AB40D5A
	v_mul_f32_e32 v91, v91, v7                                 // 000000008BCC: 0AB60F5B
	v_mul_f32_e32 v88, v88, v152                               // 000000008BD0: 0AB13158
	v_mul_f32_e32 v89, v89, v153                               // 000000008BD4: 0AB33359
	v_mul_f32_e32 v90, v90, v154                               // 000000008BD8: 0AB5355A
	v_mul_f32_e32 v91, v91, v155                               // 000000008BDC: 0AB7375B
	v_pk_mul_f32 v[4:5], v[92:93], v[92:93]                    // 000000008BE0: D3B14004 1802B95C
	v_pk_mul_f32 v[6:7], v[94:95], v[94:95]                    // 000000008BE8: D3B14006 1802BD5E
	v_pk_fma_f32 v[4:5], v[4:5], s[78:79], v[8:9]              // 000000008BF0: D3B04004 1C209D04
	v_pk_fma_f32 v[6:7], v[6:7], s[78:79], v[8:9]              // 000000008BF8: D3B04006 1C209D06
	v_pk_mul_f32 v[4:5], v[4:5], v[92:93]                      // 000000008C00: D3B14004 1802B904
	v_pk_mul_f32 v[6:7], v[6:7], v[94:95]                      // 000000008C08: D3B14006 1802BD06
	v_pk_mul_f32 v[4:5], v[4:5], s[60:61]                      // 000000008C10: D3B14004 18007904
	v_pk_mul_f32 v[6:7], v[6:7], s[60:61]                      // 000000008C18: D3B14006 18007906
	v_exp_f32_e32 v4, v4                                       // 000000008C20: 7E084104
	v_exp_f32_e32 v5, v5                                       // 000000008C24: 7E0A4105
	v_exp_f32_e32 v6, v6                                       // 000000008C28: 7E0C4106
	v_exp_f32_e32 v7, v7                                       // 000000008C2C: 7E0E4107
	v_add_f32_e64 v4, v4, 1.0                                  // 000000008C30: D1010004 0001E504
	v_add_f32_e64 v5, v5, 1.0                                  // 000000008C38: D1010005 0001E505
	v_add_f32_e64 v6, v6, 1.0                                  // 000000008C40: D1010006 0001E506
	v_add_f32_e64 v7, v7, 1.0                                  // 000000008C48: D1010007 0001E507
	v_rcp_f32_e32 v4, v4                                       // 000000008C50: 7E084504
	v_rcp_f32_e32 v5, v5                                       // 000000008C54: 7E0A4505
	v_rcp_f32_e32 v6, v6                                       // 000000008C58: 7E0C4506
	v_rcp_f32_e32 v7, v7                                       // 000000008C5C: 7E0E4507
	v_mul_f32_e32 v92, v92, v4                                 // 000000008C60: 0AB8095C
	v_mul_f32_e32 v93, v93, v5                                 // 000000008C64: 0ABA0B5D
	v_mul_f32_e32 v94, v94, v6                                 // 000000008C68: 0ABC0D5E
	v_mul_f32_e32 v95, v95, v7                                 // 000000008C6C: 0ABE0F5F
	v_mul_f32_e32 v92, v92, v156                               // 000000008C70: 0AB9395C
	v_mul_f32_e32 v93, v93, v157                               // 000000008C74: 0ABB3B5D
	v_mul_f32_e32 v94, v94, v158                               // 000000008C78: 0ABD3D5E
	v_mul_f32_e32 v95, v95, v159                               // 000000008C7C: 0ABF3F5F
	v_pk_mul_f32 v[4:5], v[96:97], v[96:97]                    // 000000008C80: D3B14004 1802C160
	v_pk_mul_f32 v[6:7], v[98:99], v[98:99]                    // 000000008C88: D3B14006 1802C562
	v_pk_fma_f32 v[4:5], v[4:5], s[78:79], v[8:9]              // 000000008C90: D3B04004 1C209D04
	v_pk_fma_f32 v[6:7], v[6:7], s[78:79], v[8:9]              // 000000008C98: D3B04006 1C209D06
	v_pk_mul_f32 v[4:5], v[4:5], v[96:97]                      // 000000008CA0: D3B14004 1802C104
	v_pk_mul_f32 v[6:7], v[6:7], v[98:99]                      // 000000008CA8: D3B14006 1802C506
	v_pk_mul_f32 v[4:5], v[4:5], s[60:61]                      // 000000008CB0: D3B14004 18007904
	v_pk_mul_f32 v[6:7], v[6:7], s[60:61]                      // 000000008CB8: D3B14006 18007906
	v_exp_f32_e32 v4, v4                                       // 000000008CC0: 7E084104
	v_exp_f32_e32 v5, v5                                       // 000000008CC4: 7E0A4105
	v_exp_f32_e32 v6, v6                                       // 000000008CC8: 7E0C4106
	v_exp_f32_e32 v7, v7                                       // 000000008CCC: 7E0E4107
	v_add_f32_e64 v4, v4, 1.0                                  // 000000008CD0: D1010004 0001E504
	v_add_f32_e64 v5, v5, 1.0                                  // 000000008CD8: D1010005 0001E505
	v_add_f32_e64 v6, v6, 1.0                                  // 000000008CE0: D1010006 0001E506
	v_add_f32_e64 v7, v7, 1.0                                  // 000000008CE8: D1010007 0001E507
	v_rcp_f32_e32 v4, v4                                       // 000000008CF0: 7E084504
	v_rcp_f32_e32 v5, v5                                       // 000000008CF4: 7E0A4505
	v_rcp_f32_e32 v6, v6                                       // 000000008CF8: 7E0C4506
	v_rcp_f32_e32 v7, v7                                       // 000000008CFC: 7E0E4507
	v_mul_f32_e32 v96, v96, v4                                 // 000000008D00: 0AC00960
	v_mul_f32_e32 v97, v97, v5                                 // 000000008D04: 0AC20B61
	v_mul_f32_e32 v98, v98, v6                                 // 000000008D08: 0AC40D62
	v_mul_f32_e32 v99, v99, v7                                 // 000000008D0C: 0AC60F63
	v_mul_f32_e32 v96, v96, v160                               // 000000008D10: 0AC14160
	v_mul_f32_e32 v97, v97, v161                               // 000000008D14: 0AC34361
	v_mul_f32_e32 v98, v98, v162                               // 000000008D18: 0AC54562
	v_mul_f32_e32 v99, v99, v163                               // 000000008D1C: 0AC74763
	v_pk_mul_f32 v[4:5], v[100:101], v[100:101]                // 000000008D20: D3B14004 1802C964
	v_pk_mul_f32 v[6:7], v[102:103], v[102:103]                // 000000008D28: D3B14006 1802CD66
	v_pk_fma_f32 v[4:5], v[4:5], s[78:79], v[8:9]              // 000000008D30: D3B04004 1C209D04
	v_pk_fma_f32 v[6:7], v[6:7], s[78:79], v[8:9]              // 000000008D38: D3B04006 1C209D06
	v_pk_mul_f32 v[4:5], v[4:5], v[100:101]                    // 000000008D40: D3B14004 1802C904
	v_pk_mul_f32 v[6:7], v[6:7], v[102:103]                    // 000000008D48: D3B14006 1802CD06
	v_pk_mul_f32 v[4:5], v[4:5], s[60:61]                      // 000000008D50: D3B14004 18007904
	v_pk_mul_f32 v[6:7], v[6:7], s[60:61]                      // 000000008D58: D3B14006 18007906
	v_exp_f32_e32 v4, v4                                       // 000000008D60: 7E084104
	v_exp_f32_e32 v5, v5                                       // 000000008D64: 7E0A4105
	v_exp_f32_e32 v6, v6                                       // 000000008D68: 7E0C4106
	v_exp_f32_e32 v7, v7                                       // 000000008D6C: 7E0E4107
	v_add_f32_e64 v4, v4, 1.0                                  // 000000008D70: D1010004 0001E504
	v_add_f32_e64 v5, v5, 1.0                                  // 000000008D78: D1010005 0001E505
	v_add_f32_e64 v6, v6, 1.0                                  // 000000008D80: D1010006 0001E506
	v_add_f32_e64 v7, v7, 1.0                                  // 000000008D88: D1010007 0001E507
	v_rcp_f32_e32 v4, v4                                       // 000000008D90: 7E084504
	v_rcp_f32_e32 v5, v5                                       // 000000008D94: 7E0A4505
	v_rcp_f32_e32 v6, v6                                       // 000000008D98: 7E0C4506
	v_rcp_f32_e32 v7, v7                                       // 000000008D9C: 7E0E4507
	v_mul_f32_e32 v100, v100, v4                               // 000000008DA0: 0AC80964
	v_mul_f32_e32 v101, v101, v5                               // 000000008DA4: 0ACA0B65
	v_mul_f32_e32 v102, v102, v6                               // 000000008DA8: 0ACC0D66
	v_mul_f32_e32 v103, v103, v7                               // 000000008DAC: 0ACE0F67
	v_mul_f32_e32 v100, v100, v164                             // 000000008DB0: 0AC94964
	v_mul_f32_e32 v101, v101, v165                             // 000000008DB4: 0ACB4B65
	v_mul_f32_e32 v102, v102, v166                             // 000000008DB8: 0ACD4D66
	v_mul_f32_e32 v103, v103, v167                             // 000000008DBC: 0ACF4F67
	v_pk_mul_f32 v[4:5], v[104:105], v[104:105]                // 000000008DC0: D3B14004 1802D168
	v_pk_mul_f32 v[6:7], v[106:107], v[106:107]                // 000000008DC8: D3B14006 1802D56A
	v_pk_fma_f32 v[4:5], v[4:5], s[78:79], v[8:9]              // 000000008DD0: D3B04004 1C209D04
	v_pk_fma_f32 v[6:7], v[6:7], s[78:79], v[8:9]              // 000000008DD8: D3B04006 1C209D06
	v_pk_mul_f32 v[4:5], v[4:5], v[104:105]                    // 000000008DE0: D3B14004 1802D104
	v_pk_mul_f32 v[6:7], v[6:7], v[106:107]                    // 000000008DE8: D3B14006 1802D506
	v_pk_mul_f32 v[4:5], v[4:5], s[60:61]                      // 000000008DF0: D3B14004 18007904
	v_pk_mul_f32 v[6:7], v[6:7], s[60:61]                      // 000000008DF8: D3B14006 18007906
	v_exp_f32_e32 v4, v4                                       // 000000008E00: 7E084104
	v_exp_f32_e32 v5, v5                                       // 000000008E04: 7E0A4105
	v_exp_f32_e32 v6, v6                                       // 000000008E08: 7E0C4106
	v_exp_f32_e32 v7, v7                                       // 000000008E0C: 7E0E4107
	v_add_f32_e64 v4, v4, 1.0                                  // 000000008E10: D1010004 0001E504
	v_add_f32_e64 v5, v5, 1.0                                  // 000000008E18: D1010005 0001E505
	v_add_f32_e64 v6, v6, 1.0                                  // 000000008E20: D1010006 0001E506
	v_add_f32_e64 v7, v7, 1.0                                  // 000000008E28: D1010007 0001E507
	v_rcp_f32_e32 v4, v4                                       // 000000008E30: 7E084504
	v_rcp_f32_e32 v5, v5                                       // 000000008E34: 7E0A4505
	v_rcp_f32_e32 v6, v6                                       // 000000008E38: 7E0C4506
	v_rcp_f32_e32 v7, v7                                       // 000000008E3C: 7E0E4507
	v_mul_f32_e32 v104, v104, v4                               // 000000008E40: 0AD00968
	v_mul_f32_e32 v105, v105, v5                               // 000000008E44: 0AD20B69
	v_mul_f32_e32 v106, v106, v6                               // 000000008E48: 0AD40D6A
	v_mul_f32_e32 v107, v107, v7                               // 000000008E4C: 0AD60F6B
	v_mul_f32_e32 v104, v104, v168                             // 000000008E50: 0AD15168
	v_mul_f32_e32 v105, v105, v169                             // 000000008E54: 0AD35369
	v_mul_f32_e32 v106, v106, v170                             // 000000008E58: 0AD5556A
	v_mul_f32_e32 v107, v107, v171                             // 000000008E5C: 0AD7576B
	v_pk_mul_f32 v[4:5], v[108:109], v[108:109]                // 000000008E60: D3B14004 1802D96C
	v_pk_mul_f32 v[6:7], v[110:111], v[110:111]                // 000000008E68: D3B14006 1802DD6E
	v_pk_fma_f32 v[4:5], v[4:5], s[78:79], v[8:9]              // 000000008E70: D3B04004 1C209D04
	v_pk_fma_f32 v[6:7], v[6:7], s[78:79], v[8:9]              // 000000008E78: D3B04006 1C209D06
	v_pk_mul_f32 v[4:5], v[4:5], v[108:109]                    // 000000008E80: D3B14004 1802D904
	v_pk_mul_f32 v[6:7], v[6:7], v[110:111]                    // 000000008E88: D3B14006 1802DD06
	v_pk_mul_f32 v[4:5], v[4:5], s[60:61]                      // 000000008E90: D3B14004 18007904
	v_pk_mul_f32 v[6:7], v[6:7], s[60:61]                      // 000000008E98: D3B14006 18007906
	v_exp_f32_e32 v4, v4                                       // 000000008EA0: 7E084104
	v_exp_f32_e32 v5, v5                                       // 000000008EA4: 7E0A4105
	v_exp_f32_e32 v6, v6                                       // 000000008EA8: 7E0C4106
	v_exp_f32_e32 v7, v7                                       // 000000008EAC: 7E0E4107
	v_add_f32_e64 v4, v4, 1.0                                  // 000000008EB0: D1010004 0001E504
	v_add_f32_e64 v5, v5, 1.0                                  // 000000008EB8: D1010005 0001E505
	v_add_f32_e64 v6, v6, 1.0                                  // 000000008EC0: D1010006 0001E506
	v_add_f32_e64 v7, v7, 1.0                                  // 000000008EC8: D1010007 0001E507
	v_rcp_f32_e32 v4, v4                                       // 000000008ED0: 7E084504
	v_rcp_f32_e32 v5, v5                                       // 000000008ED4: 7E0A4505
	v_rcp_f32_e32 v6, v6                                       // 000000008ED8: 7E0C4506
	v_rcp_f32_e32 v7, v7                                       // 000000008EDC: 7E0E4507
	v_mul_f32_e32 v108, v108, v4                               // 000000008EE0: 0AD8096C
	v_mul_f32_e32 v109, v109, v5                               // 000000008EE4: 0ADA0B6D
	v_mul_f32_e32 v110, v110, v6                               // 000000008EE8: 0ADC0D6E
	v_mul_f32_e32 v111, v111, v7                               // 000000008EEC: 0ADE0F6F
	v_mul_f32_e32 v108, v108, v172                             // 000000008EF0: 0AD9596C
	v_mul_f32_e32 v109, v109, v173                             // 000000008EF4: 0ADB5B6D
	v_mul_f32_e32 v110, v110, v174                             // 000000008EF8: 0ADD5D6E
	v_mul_f32_e32 v111, v111, v175                             // 000000008EFC: 0ADF5F6F
	v_pk_mul_f32 v[4:5], v[112:113], v[112:113]                // 000000008F00: D3B14004 1802E170
	v_pk_mul_f32 v[6:7], v[114:115], v[114:115]                // 000000008F08: D3B14006 1802E572
	v_pk_fma_f32 v[4:5], v[4:5], s[78:79], v[8:9]              // 000000008F10: D3B04004 1C209D04
	v_pk_fma_f32 v[6:7], v[6:7], s[78:79], v[8:9]              // 000000008F18: D3B04006 1C209D06
	v_pk_mul_f32 v[4:5], v[4:5], v[112:113]                    // 000000008F20: D3B14004 1802E104
	v_pk_mul_f32 v[6:7], v[6:7], v[114:115]                    // 000000008F28: D3B14006 1802E506
	v_pk_mul_f32 v[4:5], v[4:5], s[60:61]                      // 000000008F30: D3B14004 18007904
	v_pk_mul_f32 v[6:7], v[6:7], s[60:61]                      // 000000008F38: D3B14006 18007906
	v_exp_f32_e32 v4, v4                                       // 000000008F40: 7E084104
	v_exp_f32_e32 v5, v5                                       // 000000008F44: 7E0A4105
	v_exp_f32_e32 v6, v6                                       // 000000008F48: 7E0C4106
	v_exp_f32_e32 v7, v7                                       // 000000008F4C: 7E0E4107
	v_add_f32_e64 v4, v4, 1.0                                  // 000000008F50: D1010004 0001E504
	v_add_f32_e64 v5, v5, 1.0                                  // 000000008F58: D1010005 0001E505
	v_add_f32_e64 v6, v6, 1.0                                  // 000000008F60: D1010006 0001E506
	v_add_f32_e64 v7, v7, 1.0                                  // 000000008F68: D1010007 0001E507
	v_rcp_f32_e32 v4, v4                                       // 000000008F70: 7E084504
	v_rcp_f32_e32 v5, v5                                       // 000000008F74: 7E0A4505
	v_rcp_f32_e32 v6, v6                                       // 000000008F78: 7E0C4506
	v_rcp_f32_e32 v7, v7                                       // 000000008F7C: 7E0E4507
	v_mul_f32_e32 v112, v112, v4                               // 000000008F80: 0AE00970
	v_mul_f32_e32 v113, v113, v5                               // 000000008F84: 0AE20B71
	v_mul_f32_e32 v114, v114, v6                               // 000000008F88: 0AE40D72
	v_mul_f32_e32 v115, v115, v7                               // 000000008F8C: 0AE60F73
	v_mul_f32_e32 v112, v112, v176                             // 000000008F90: 0AE16170
	v_mul_f32_e32 v113, v113, v177                             // 000000008F94: 0AE36371
	v_mul_f32_e32 v114, v114, v178                             // 000000008F98: 0AE56572
	v_mul_f32_e32 v115, v115, v179                             // 000000008F9C: 0AE76773
	s_branch label_1B6C                                        // 000000008FA0: BF820200

0000000000008fa4 <label_196C>:
	v_mul_f32_e64 v4, -v52, s6                                 // 000000008FA4: D1050004 20000D34
	v_mul_f32_e64 v5, -v53, s6                                 // 000000008FAC: D1050005 20000D35
	v_mul_f32_e64 v6, -v54, s6                                 // 000000008FB4: D1050006 20000D36
	v_mul_f32_e64 v7, -v55, s6                                 // 000000008FBC: D1050007 20000D37
	v_exp_f32_e32 v4, v4                                       // 000000008FC4: 7E084104
	v_exp_f32_e32 v5, v5                                       // 000000008FC8: 7E0A4105
	v_exp_f32_e32 v6, v6                                       // 000000008FCC: 7E0C4106
	v_exp_f32_e32 v7, v7                                       // 000000008FD0: 7E0E4107
	v_add_f32_e64 v4, v4, 1.0                                  // 000000008FD4: D1010004 0001E504
	v_add_f32_e64 v5, v5, 1.0                                  // 000000008FDC: D1010005 0001E505
	v_add_f32_e64 v6, v6, 1.0                                  // 000000008FE4: D1010006 0001E506
	v_add_f32_e64 v7, v7, 1.0                                  // 000000008FEC: D1010007 0001E507
	v_rcp_f32_e32 v4, v4                                       // 000000008FF4: 7E084504
	v_rcp_f32_e32 v5, v5                                       // 000000008FF8: 7E0A4505
	v_rcp_f32_e32 v6, v6                                       // 000000008FFC: 7E0C4506
	v_rcp_f32_e32 v7, v7                                       // 000000009000: 7E0E4507
	v_mul_f32_e32 v52, v52, v4                                 // 000000009004: 0A680934
	v_mul_f32_e32 v53, v53, v5                                 // 000000009008: 0A6A0B35
	v_mul_f32_e32 v54, v54, v6                                 // 00000000900C: 0A6C0D36
	v_mul_f32_e32 v55, v55, v7                                 // 000000009010: 0A6E0F37
	v_mul_f32_e32 v52, v52, v116                               // 000000009014: 0A68E934
	v_mul_f32_e32 v53, v53, v117                               // 000000009018: 0A6AEB35
	v_mul_f32_e32 v54, v54, v118                               // 00000000901C: 0A6CED36
	v_mul_f32_e32 v55, v55, v119                               // 000000009020: 0A6EEF37
	v_mul_f32_e64 v4, -v56, s6                                 // 000000009024: D1050004 20000D38
	v_mul_f32_e64 v5, -v57, s6                                 // 00000000902C: D1050005 20000D39
	v_mul_f32_e64 v6, -v58, s6                                 // 000000009034: D1050006 20000D3A
	v_mul_f32_e64 v7, -v59, s6                                 // 00000000903C: D1050007 20000D3B
	v_exp_f32_e32 v4, v4                                       // 000000009044: 7E084104
	v_exp_f32_e32 v5, v5                                       // 000000009048: 7E0A4105
	v_exp_f32_e32 v6, v6                                       // 00000000904C: 7E0C4106
	v_exp_f32_e32 v7, v7                                       // 000000009050: 7E0E4107
	v_add_f32_e64 v4, v4, 1.0                                  // 000000009054: D1010004 0001E504
	v_add_f32_e64 v5, v5, 1.0                                  // 00000000905C: D1010005 0001E505
	v_add_f32_e64 v6, v6, 1.0                                  // 000000009064: D1010006 0001E506
	v_add_f32_e64 v7, v7, 1.0                                  // 00000000906C: D1010007 0001E507
	v_rcp_f32_e32 v4, v4                                       // 000000009074: 7E084504
	v_rcp_f32_e32 v5, v5                                       // 000000009078: 7E0A4505
	v_rcp_f32_e32 v6, v6                                       // 00000000907C: 7E0C4506
	v_rcp_f32_e32 v7, v7                                       // 000000009080: 7E0E4507
	v_mul_f32_e32 v56, v56, v4                                 // 000000009084: 0A700938
	v_mul_f32_e32 v57, v57, v5                                 // 000000009088: 0A720B39
	v_mul_f32_e32 v58, v58, v6                                 // 00000000908C: 0A740D3A
	v_mul_f32_e32 v59, v59, v7                                 // 000000009090: 0A760F3B
	v_mul_f32_e32 v56, v56, v120                               // 000000009094: 0A70F138
	v_mul_f32_e32 v57, v57, v121                               // 000000009098: 0A72F339
	v_mul_f32_e32 v58, v58, v122                               // 00000000909C: 0A74F53A
	v_mul_f32_e32 v59, v59, v123                               // 0000000090A0: 0A76F73B
	v_mul_f32_e64 v4, -v60, s6                                 // 0000000090A4: D1050004 20000D3C
	v_mul_f32_e64 v5, -v61, s6                                 // 0000000090AC: D1050005 20000D3D
	v_mul_f32_e64 v6, -v62, s6                                 // 0000000090B4: D1050006 20000D3E
	v_mul_f32_e64 v7, -v63, s6                                 // 0000000090BC: D1050007 20000D3F
	v_exp_f32_e32 v4, v4                                       // 0000000090C4: 7E084104
	v_exp_f32_e32 v5, v5                                       // 0000000090C8: 7E0A4105
	v_exp_f32_e32 v6, v6                                       // 0000000090CC: 7E0C4106
	v_exp_f32_e32 v7, v7                                       // 0000000090D0: 7E0E4107
	v_add_f32_e64 v4, v4, 1.0                                  // 0000000090D4: D1010004 0001E504
	v_add_f32_e64 v5, v5, 1.0                                  // 0000000090DC: D1010005 0001E505
	v_add_f32_e64 v6, v6, 1.0                                  // 0000000090E4: D1010006 0001E506
	v_add_f32_e64 v7, v7, 1.0                                  // 0000000090EC: D1010007 0001E507
	v_rcp_f32_e32 v4, v4                                       // 0000000090F4: 7E084504
	v_rcp_f32_e32 v5, v5                                       // 0000000090F8: 7E0A4505
	v_rcp_f32_e32 v6, v6                                       // 0000000090FC: 7E0C4506
	v_rcp_f32_e32 v7, v7                                       // 000000009100: 7E0E4507
	v_mul_f32_e32 v60, v60, v4                                 // 000000009104: 0A78093C
	v_mul_f32_e32 v61, v61, v5                                 // 000000009108: 0A7A0B3D
	v_mul_f32_e32 v62, v62, v6                                 // 00000000910C: 0A7C0D3E
	v_mul_f32_e32 v63, v63, v7                                 // 000000009110: 0A7E0F3F
	v_mul_f32_e32 v60, v60, v124                               // 000000009114: 0A78F93C
	v_mul_f32_e32 v61, v61, v125                               // 000000009118: 0A7AFB3D
	v_mul_f32_e32 v62, v62, v126                               // 00000000911C: 0A7CFD3E
	v_mul_f32_e32 v63, v63, v127                               // 000000009120: 0A7EFF3F
	v_mul_f32_e64 v4, -v64, s6                                 // 000000009124: D1050004 20000D40
	v_mul_f32_e64 v5, -v65, s6                                 // 00000000912C: D1050005 20000D41
	v_mul_f32_e64 v6, -v66, s6                                 // 000000009134: D1050006 20000D42
	v_mul_f32_e64 v7, -v67, s6                                 // 00000000913C: D1050007 20000D43
	v_exp_f32_e32 v4, v4                                       // 000000009144: 7E084104
	v_exp_f32_e32 v5, v5                                       // 000000009148: 7E0A4105
	v_exp_f32_e32 v6, v6                                       // 00000000914C: 7E0C4106
	v_exp_f32_e32 v7, v7                                       // 000000009150: 7E0E4107
	v_add_f32_e64 v4, v4, 1.0                                  // 000000009154: D1010004 0001E504
	v_add_f32_e64 v5, v5, 1.0                                  // 00000000915C: D1010005 0001E505
	v_add_f32_e64 v6, v6, 1.0                                  // 000000009164: D1010006 0001E506
	v_add_f32_e64 v7, v7, 1.0                                  // 00000000916C: D1010007 0001E507
	v_rcp_f32_e32 v4, v4                                       // 000000009174: 7E084504
	v_rcp_f32_e32 v5, v5                                       // 000000009178: 7E0A4505
	v_rcp_f32_e32 v6, v6                                       // 00000000917C: 7E0C4506
	v_rcp_f32_e32 v7, v7                                       // 000000009180: 7E0E4507
	v_mul_f32_e32 v64, v64, v4                                 // 000000009184: 0A800940
	v_mul_f32_e32 v65, v65, v5                                 // 000000009188: 0A820B41
	v_mul_f32_e32 v66, v66, v6                                 // 00000000918C: 0A840D42
	v_mul_f32_e32 v67, v67, v7                                 // 000000009190: 0A860F43
	v_mul_f32_e32 v64, v64, v128                               // 000000009194: 0A810140
	v_mul_f32_e32 v65, v65, v129                               // 000000009198: 0A830341
	v_mul_f32_e32 v66, v66, v130                               // 00000000919C: 0A850542
	v_mul_f32_e32 v67, v67, v131                               // 0000000091A0: 0A870743
	v_mul_f32_e64 v4, -v68, s6                                 // 0000000091A4: D1050004 20000D44
	v_mul_f32_e64 v5, -v69, s6                                 // 0000000091AC: D1050005 20000D45
	v_mul_f32_e64 v6, -v70, s6                                 // 0000000091B4: D1050006 20000D46
	v_mul_f32_e64 v7, -v71, s6                                 // 0000000091BC: D1050007 20000D47
	v_exp_f32_e32 v4, v4                                       // 0000000091C4: 7E084104
	v_exp_f32_e32 v5, v5                                       // 0000000091C8: 7E0A4105
	v_exp_f32_e32 v6, v6                                       // 0000000091CC: 7E0C4106
	v_exp_f32_e32 v7, v7                                       // 0000000091D0: 7E0E4107
	v_add_f32_e64 v4, v4, 1.0                                  // 0000000091D4: D1010004 0001E504
	v_add_f32_e64 v5, v5, 1.0                                  // 0000000091DC: D1010005 0001E505
	v_add_f32_e64 v6, v6, 1.0                                  // 0000000091E4: D1010006 0001E506
	v_add_f32_e64 v7, v7, 1.0                                  // 0000000091EC: D1010007 0001E507
	v_rcp_f32_e32 v4, v4                                       // 0000000091F4: 7E084504
	v_rcp_f32_e32 v5, v5                                       // 0000000091F8: 7E0A4505
	v_rcp_f32_e32 v6, v6                                       // 0000000091FC: 7E0C4506
	v_rcp_f32_e32 v7, v7                                       // 000000009200: 7E0E4507
	v_mul_f32_e32 v68, v68, v4                                 // 000000009204: 0A880944
	v_mul_f32_e32 v69, v69, v5                                 // 000000009208: 0A8A0B45
	v_mul_f32_e32 v70, v70, v6                                 // 00000000920C: 0A8C0D46
	v_mul_f32_e32 v71, v71, v7                                 // 000000009210: 0A8E0F47
	v_mul_f32_e32 v68, v68, v132                               // 000000009214: 0A890944
	v_mul_f32_e32 v69, v69, v133                               // 000000009218: 0A8B0B45
	v_mul_f32_e32 v70, v70, v134                               // 00000000921C: 0A8D0D46
	v_mul_f32_e32 v71, v71, v135                               // 000000009220: 0A8F0F47
	v_mul_f32_e64 v4, -v72, s6                                 // 000000009224: D1050004 20000D48
	v_mul_f32_e64 v5, -v73, s6                                 // 00000000922C: D1050005 20000D49
	v_mul_f32_e64 v6, -v74, s6                                 // 000000009234: D1050006 20000D4A
	v_mul_f32_e64 v7, -v75, s6                                 // 00000000923C: D1050007 20000D4B
	v_exp_f32_e32 v4, v4                                       // 000000009244: 7E084104
	v_exp_f32_e32 v5, v5                                       // 000000009248: 7E0A4105
	v_exp_f32_e32 v6, v6                                       // 00000000924C: 7E0C4106
	v_exp_f32_e32 v7, v7                                       // 000000009250: 7E0E4107
	v_add_f32_e64 v4, v4, 1.0                                  // 000000009254: D1010004 0001E504
	v_add_f32_e64 v5, v5, 1.0                                  // 00000000925C: D1010005 0001E505
	v_add_f32_e64 v6, v6, 1.0                                  // 000000009264: D1010006 0001E506
	v_add_f32_e64 v7, v7, 1.0                                  // 00000000926C: D1010007 0001E507
	v_rcp_f32_e32 v4, v4                                       // 000000009274: 7E084504
	v_rcp_f32_e32 v5, v5                                       // 000000009278: 7E0A4505
	v_rcp_f32_e32 v6, v6                                       // 00000000927C: 7E0C4506
	v_rcp_f32_e32 v7, v7                                       // 000000009280: 7E0E4507
	v_mul_f32_e32 v72, v72, v4                                 // 000000009284: 0A900948
	v_mul_f32_e32 v73, v73, v5                                 // 000000009288: 0A920B49
	v_mul_f32_e32 v74, v74, v6                                 // 00000000928C: 0A940D4A
	v_mul_f32_e32 v75, v75, v7                                 // 000000009290: 0A960F4B
	v_mul_f32_e32 v72, v72, v136                               // 000000009294: 0A911148
	v_mul_f32_e32 v73, v73, v137                               // 000000009298: 0A931349
	v_mul_f32_e32 v74, v74, v138                               // 00000000929C: 0A95154A
	v_mul_f32_e32 v75, v75, v139                               // 0000000092A0: 0A97174B
	v_mul_f32_e64 v4, -v76, s6                                 // 0000000092A4: D1050004 20000D4C
	v_mul_f32_e64 v5, -v77, s6                                 // 0000000092AC: D1050005 20000D4D
	v_mul_f32_e64 v6, -v78, s6                                 // 0000000092B4: D1050006 20000D4E
	v_mul_f32_e64 v7, -v79, s6                                 // 0000000092BC: D1050007 20000D4F
	v_exp_f32_e32 v4, v4                                       // 0000000092C4: 7E084104
	v_exp_f32_e32 v5, v5                                       // 0000000092C8: 7E0A4105
	v_exp_f32_e32 v6, v6                                       // 0000000092CC: 7E0C4106
	v_exp_f32_e32 v7, v7                                       // 0000000092D0: 7E0E4107
	v_add_f32_e64 v4, v4, 1.0                                  // 0000000092D4: D1010004 0001E504
	v_add_f32_e64 v5, v5, 1.0                                  // 0000000092DC: D1010005 0001E505
	v_add_f32_e64 v6, v6, 1.0                                  // 0000000092E4: D1010006 0001E506
	v_add_f32_e64 v7, v7, 1.0                                  // 0000000092EC: D1010007 0001E507
	v_rcp_f32_e32 v4, v4                                       // 0000000092F4: 7E084504
	v_rcp_f32_e32 v5, v5                                       // 0000000092F8: 7E0A4505
	v_rcp_f32_e32 v6, v6                                       // 0000000092FC: 7E0C4506
	v_rcp_f32_e32 v7, v7                                       // 000000009300: 7E0E4507
	v_mul_f32_e32 v76, v76, v4                                 // 000000009304: 0A98094C
	v_mul_f32_e32 v77, v77, v5                                 // 000000009308: 0A9A0B4D
	v_mul_f32_e32 v78, v78, v6                                 // 00000000930C: 0A9C0D4E
	v_mul_f32_e32 v79, v79, v7                                 // 000000009310: 0A9E0F4F
	v_mul_f32_e32 v76, v76, v140                               // 000000009314: 0A99194C
	v_mul_f32_e32 v77, v77, v141                               // 000000009318: 0A9B1B4D
	v_mul_f32_e32 v78, v78, v142                               // 00000000931C: 0A9D1D4E
	v_mul_f32_e32 v79, v79, v143                               // 000000009320: 0A9F1F4F
	v_mul_f32_e64 v4, -v80, s6                                 // 000000009324: D1050004 20000D50
	v_mul_f32_e64 v5, -v81, s6                                 // 00000000932C: D1050005 20000D51
	v_mul_f32_e64 v6, -v82, s6                                 // 000000009334: D1050006 20000D52
	v_mul_f32_e64 v7, -v83, s6                                 // 00000000933C: D1050007 20000D53
	v_exp_f32_e32 v4, v4                                       // 000000009344: 7E084104
	v_exp_f32_e32 v5, v5                                       // 000000009348: 7E0A4105
	v_exp_f32_e32 v6, v6                                       // 00000000934C: 7E0C4106
	v_exp_f32_e32 v7, v7                                       // 000000009350: 7E0E4107
	v_add_f32_e64 v4, v4, 1.0                                  // 000000009354: D1010004 0001E504
	v_add_f32_e64 v5, v5, 1.0                                  // 00000000935C: D1010005 0001E505
	v_add_f32_e64 v6, v6, 1.0                                  // 000000009364: D1010006 0001E506
	v_add_f32_e64 v7, v7, 1.0                                  // 00000000936C: D1010007 0001E507
	v_rcp_f32_e32 v4, v4                                       // 000000009374: 7E084504
	v_rcp_f32_e32 v5, v5                                       // 000000009378: 7E0A4505
	v_rcp_f32_e32 v6, v6                                       // 00000000937C: 7E0C4506
	v_rcp_f32_e32 v7, v7                                       // 000000009380: 7E0E4507
	v_mul_f32_e32 v80, v80, v4                                 // 000000009384: 0AA00950
	v_mul_f32_e32 v81, v81, v5                                 // 000000009388: 0AA20B51
	v_mul_f32_e32 v82, v82, v6                                 // 00000000938C: 0AA40D52
	v_mul_f32_e32 v83, v83, v7                                 // 000000009390: 0AA60F53
	v_mul_f32_e32 v80, v80, v144                               // 000000009394: 0AA12150
	v_mul_f32_e32 v81, v81, v145                               // 000000009398: 0AA32351
	v_mul_f32_e32 v82, v82, v146                               // 00000000939C: 0AA52552
	v_mul_f32_e32 v83, v83, v147                               // 0000000093A0: 0AA72753
	v_mul_f32_e64 v4, -v84, s6                                 // 0000000093A4: D1050004 20000D54
	v_mul_f32_e64 v5, -v85, s6                                 // 0000000093AC: D1050005 20000D55
	v_mul_f32_e64 v6, -v86, s6                                 // 0000000093B4: D1050006 20000D56
	v_mul_f32_e64 v7, -v87, s6                                 // 0000000093BC: D1050007 20000D57
	v_exp_f32_e32 v4, v4                                       // 0000000093C4: 7E084104
	v_exp_f32_e32 v5, v5                                       // 0000000093C8: 7E0A4105
	v_exp_f32_e32 v6, v6                                       // 0000000093CC: 7E0C4106
	v_exp_f32_e32 v7, v7                                       // 0000000093D0: 7E0E4107
	v_add_f32_e64 v4, v4, 1.0                                  // 0000000093D4: D1010004 0001E504
	v_add_f32_e64 v5, v5, 1.0                                  // 0000000093DC: D1010005 0001E505
	v_add_f32_e64 v6, v6, 1.0                                  // 0000000093E4: D1010006 0001E506
	v_add_f32_e64 v7, v7, 1.0                                  // 0000000093EC: D1010007 0001E507
	v_rcp_f32_e32 v4, v4                                       // 0000000093F4: 7E084504
	v_rcp_f32_e32 v5, v5                                       // 0000000093F8: 7E0A4505
	v_rcp_f32_e32 v6, v6                                       // 0000000093FC: 7E0C4506
	v_rcp_f32_e32 v7, v7                                       // 000000009400: 7E0E4507
	v_mul_f32_e32 v84, v84, v4                                 // 000000009404: 0AA80954
	v_mul_f32_e32 v85, v85, v5                                 // 000000009408: 0AAA0B55
	v_mul_f32_e32 v86, v86, v6                                 // 00000000940C: 0AAC0D56
	v_mul_f32_e32 v87, v87, v7                                 // 000000009410: 0AAE0F57
	v_mul_f32_e32 v84, v84, v148                               // 000000009414: 0AA92954
	v_mul_f32_e32 v85, v85, v149                               // 000000009418: 0AAB2B55
	v_mul_f32_e32 v86, v86, v150                               // 00000000941C: 0AAD2D56
	v_mul_f32_e32 v87, v87, v151                               // 000000009420: 0AAF2F57
	v_mul_f32_e64 v4, -v88, s6                                 // 000000009424: D1050004 20000D58
	v_mul_f32_e64 v5, -v89, s6                                 // 00000000942C: D1050005 20000D59
	v_mul_f32_e64 v6, -v90, s6                                 // 000000009434: D1050006 20000D5A
	v_mul_f32_e64 v7, -v91, s6                                 // 00000000943C: D1050007 20000D5B
	v_exp_f32_e32 v4, v4                                       // 000000009444: 7E084104
	v_exp_f32_e32 v5, v5                                       // 000000009448: 7E0A4105
	v_exp_f32_e32 v6, v6                                       // 00000000944C: 7E0C4106
	v_exp_f32_e32 v7, v7                                       // 000000009450: 7E0E4107
	v_add_f32_e64 v4, v4, 1.0                                  // 000000009454: D1010004 0001E504
	v_add_f32_e64 v5, v5, 1.0                                  // 00000000945C: D1010005 0001E505
	v_add_f32_e64 v6, v6, 1.0                                  // 000000009464: D1010006 0001E506
	v_add_f32_e64 v7, v7, 1.0                                  // 00000000946C: D1010007 0001E507
	v_rcp_f32_e32 v4, v4                                       // 000000009474: 7E084504
	v_rcp_f32_e32 v5, v5                                       // 000000009478: 7E0A4505
	v_rcp_f32_e32 v6, v6                                       // 00000000947C: 7E0C4506
	v_rcp_f32_e32 v7, v7                                       // 000000009480: 7E0E4507
	v_mul_f32_e32 v88, v88, v4                                 // 000000009484: 0AB00958
	v_mul_f32_e32 v89, v89, v5                                 // 000000009488: 0AB20B59
	v_mul_f32_e32 v90, v90, v6                                 // 00000000948C: 0AB40D5A
	v_mul_f32_e32 v91, v91, v7                                 // 000000009490: 0AB60F5B
	v_mul_f32_e32 v88, v88, v152                               // 000000009494: 0AB13158
	v_mul_f32_e32 v89, v89, v153                               // 000000009498: 0AB33359
	v_mul_f32_e32 v90, v90, v154                               // 00000000949C: 0AB5355A
	v_mul_f32_e32 v91, v91, v155                               // 0000000094A0: 0AB7375B
	v_mul_f32_e64 v4, -v92, s6                                 // 0000000094A4: D1050004 20000D5C
	v_mul_f32_e64 v5, -v93, s6                                 // 0000000094AC: D1050005 20000D5D
	v_mul_f32_e64 v6, -v94, s6                                 // 0000000094B4: D1050006 20000D5E
	v_mul_f32_e64 v7, -v95, s6                                 // 0000000094BC: D1050007 20000D5F
	v_exp_f32_e32 v4, v4                                       // 0000000094C4: 7E084104
	v_exp_f32_e32 v5, v5                                       // 0000000094C8: 7E0A4105
	v_exp_f32_e32 v6, v6                                       // 0000000094CC: 7E0C4106
	v_exp_f32_e32 v7, v7                                       // 0000000094D0: 7E0E4107
	v_add_f32_e64 v4, v4, 1.0                                  // 0000000094D4: D1010004 0001E504
	v_add_f32_e64 v5, v5, 1.0                                  // 0000000094DC: D1010005 0001E505
	v_add_f32_e64 v6, v6, 1.0                                  // 0000000094E4: D1010006 0001E506
	v_add_f32_e64 v7, v7, 1.0                                  // 0000000094EC: D1010007 0001E507
	v_rcp_f32_e32 v4, v4                                       // 0000000094F4: 7E084504
	v_rcp_f32_e32 v5, v5                                       // 0000000094F8: 7E0A4505
	v_rcp_f32_e32 v6, v6                                       // 0000000094FC: 7E0C4506
	v_rcp_f32_e32 v7, v7                                       // 000000009500: 7E0E4507
	v_mul_f32_e32 v92, v92, v4                                 // 000000009504: 0AB8095C
	v_mul_f32_e32 v93, v93, v5                                 // 000000009508: 0ABA0B5D
	v_mul_f32_e32 v94, v94, v6                                 // 00000000950C: 0ABC0D5E
	v_mul_f32_e32 v95, v95, v7                                 // 000000009510: 0ABE0F5F
	v_mul_f32_e32 v92, v92, v156                               // 000000009514: 0AB9395C
	v_mul_f32_e32 v93, v93, v157                               // 000000009518: 0ABB3B5D
	v_mul_f32_e32 v94, v94, v158                               // 00000000951C: 0ABD3D5E
	v_mul_f32_e32 v95, v95, v159                               // 000000009520: 0ABF3F5F
	v_mul_f32_e64 v4, -v96, s6                                 // 000000009524: D1050004 20000D60
	v_mul_f32_e64 v5, -v97, s6                                 // 00000000952C: D1050005 20000D61
	v_mul_f32_e64 v6, -v98, s6                                 // 000000009534: D1050006 20000D62
	v_mul_f32_e64 v7, -v99, s6                                 // 00000000953C: D1050007 20000D63
	v_exp_f32_e32 v4, v4                                       // 000000009544: 7E084104
	v_exp_f32_e32 v5, v5                                       // 000000009548: 7E0A4105
	v_exp_f32_e32 v6, v6                                       // 00000000954C: 7E0C4106
	v_exp_f32_e32 v7, v7                                       // 000000009550: 7E0E4107
	v_add_f32_e64 v4, v4, 1.0                                  // 000000009554: D1010004 0001E504
	v_add_f32_e64 v5, v5, 1.0                                  // 00000000955C: D1010005 0001E505
	v_add_f32_e64 v6, v6, 1.0                                  // 000000009564: D1010006 0001E506
	v_add_f32_e64 v7, v7, 1.0                                  // 00000000956C: D1010007 0001E507
	v_rcp_f32_e32 v4, v4                                       // 000000009574: 7E084504
	v_rcp_f32_e32 v5, v5                                       // 000000009578: 7E0A4505
	v_rcp_f32_e32 v6, v6                                       // 00000000957C: 7E0C4506
	v_rcp_f32_e32 v7, v7                                       // 000000009580: 7E0E4507
	v_mul_f32_e32 v96, v96, v4                                 // 000000009584: 0AC00960
	v_mul_f32_e32 v97, v97, v5                                 // 000000009588: 0AC20B61
	v_mul_f32_e32 v98, v98, v6                                 // 00000000958C: 0AC40D62
	v_mul_f32_e32 v99, v99, v7                                 // 000000009590: 0AC60F63
	v_mul_f32_e32 v96, v96, v160                               // 000000009594: 0AC14160
	v_mul_f32_e32 v97, v97, v161                               // 000000009598: 0AC34361
	v_mul_f32_e32 v98, v98, v162                               // 00000000959C: 0AC54562
	v_mul_f32_e32 v99, v99, v163                               // 0000000095A0: 0AC74763
	v_mul_f32_e64 v4, -v100, s6                                // 0000000095A4: D1050004 20000D64
	v_mul_f32_e64 v5, -v101, s6                                // 0000000095AC: D1050005 20000D65
	v_mul_f32_e64 v6, -v102, s6                                // 0000000095B4: D1050006 20000D66
	v_mul_f32_e64 v7, -v103, s6                                // 0000000095BC: D1050007 20000D67
	v_exp_f32_e32 v4, v4                                       // 0000000095C4: 7E084104
	v_exp_f32_e32 v5, v5                                       // 0000000095C8: 7E0A4105
	v_exp_f32_e32 v6, v6                                       // 0000000095CC: 7E0C4106
	v_exp_f32_e32 v7, v7                                       // 0000000095D0: 7E0E4107
	v_add_f32_e64 v4, v4, 1.0                                  // 0000000095D4: D1010004 0001E504
	v_add_f32_e64 v5, v5, 1.0                                  // 0000000095DC: D1010005 0001E505
	v_add_f32_e64 v6, v6, 1.0                                  // 0000000095E4: D1010006 0001E506
	v_add_f32_e64 v7, v7, 1.0                                  // 0000000095EC: D1010007 0001E507
	v_rcp_f32_e32 v4, v4                                       // 0000000095F4: 7E084504
	v_rcp_f32_e32 v5, v5                                       // 0000000095F8: 7E0A4505
	v_rcp_f32_e32 v6, v6                                       // 0000000095FC: 7E0C4506
	v_rcp_f32_e32 v7, v7                                       // 000000009600: 7E0E4507
	v_mul_f32_e32 v100, v100, v4                               // 000000009604: 0AC80964
	v_mul_f32_e32 v101, v101, v5                               // 000000009608: 0ACA0B65
	v_mul_f32_e32 v102, v102, v6                               // 00000000960C: 0ACC0D66
	v_mul_f32_e32 v103, v103, v7                               // 000000009610: 0ACE0F67
	v_mul_f32_e32 v100, v100, v164                             // 000000009614: 0AC94964
	v_mul_f32_e32 v101, v101, v165                             // 000000009618: 0ACB4B65
	v_mul_f32_e32 v102, v102, v166                             // 00000000961C: 0ACD4D66
	v_mul_f32_e32 v103, v103, v167                             // 000000009620: 0ACF4F67
	v_mul_f32_e64 v4, -v104, s6                                // 000000009624: D1050004 20000D68
	v_mul_f32_e64 v5, -v105, s6                                // 00000000962C: D1050005 20000D69
	v_mul_f32_e64 v6, -v106, s6                                // 000000009634: D1050006 20000D6A
	v_mul_f32_e64 v7, -v107, s6                                // 00000000963C: D1050007 20000D6B
	v_exp_f32_e32 v4, v4                                       // 000000009644: 7E084104
	v_exp_f32_e32 v5, v5                                       // 000000009648: 7E0A4105
	v_exp_f32_e32 v6, v6                                       // 00000000964C: 7E0C4106
	v_exp_f32_e32 v7, v7                                       // 000000009650: 7E0E4107
	v_add_f32_e64 v4, v4, 1.0                                  // 000000009654: D1010004 0001E504
	v_add_f32_e64 v5, v5, 1.0                                  // 00000000965C: D1010005 0001E505
	v_add_f32_e64 v6, v6, 1.0                                  // 000000009664: D1010006 0001E506
	v_add_f32_e64 v7, v7, 1.0                                  // 00000000966C: D1010007 0001E507
	v_rcp_f32_e32 v4, v4                                       // 000000009674: 7E084504
	v_rcp_f32_e32 v5, v5                                       // 000000009678: 7E0A4505
	v_rcp_f32_e32 v6, v6                                       // 00000000967C: 7E0C4506
	v_rcp_f32_e32 v7, v7                                       // 000000009680: 7E0E4507
	v_mul_f32_e32 v104, v104, v4                               // 000000009684: 0AD00968
	v_mul_f32_e32 v105, v105, v5                               // 000000009688: 0AD20B69
	v_mul_f32_e32 v106, v106, v6                               // 00000000968C: 0AD40D6A
	v_mul_f32_e32 v107, v107, v7                               // 000000009690: 0AD60F6B
	v_mul_f32_e32 v104, v104, v168                             // 000000009694: 0AD15168
	v_mul_f32_e32 v105, v105, v169                             // 000000009698: 0AD35369
	v_mul_f32_e32 v106, v106, v170                             // 00000000969C: 0AD5556A
	v_mul_f32_e32 v107, v107, v171                             // 0000000096A0: 0AD7576B
	v_mul_f32_e64 v4, -v108, s6                                // 0000000096A4: D1050004 20000D6C
	v_mul_f32_e64 v5, -v109, s6                                // 0000000096AC: D1050005 20000D6D
	v_mul_f32_e64 v6, -v110, s6                                // 0000000096B4: D1050006 20000D6E
	v_mul_f32_e64 v7, -v111, s6                                // 0000000096BC: D1050007 20000D6F
	v_exp_f32_e32 v4, v4                                       // 0000000096C4: 7E084104
	v_exp_f32_e32 v5, v5                                       // 0000000096C8: 7E0A4105
	v_exp_f32_e32 v6, v6                                       // 0000000096CC: 7E0C4106
	v_exp_f32_e32 v7, v7                                       // 0000000096D0: 7E0E4107
	v_add_f32_e64 v4, v4, 1.0                                  // 0000000096D4: D1010004 0001E504
	v_add_f32_e64 v5, v5, 1.0                                  // 0000000096DC: D1010005 0001E505
	v_add_f32_e64 v6, v6, 1.0                                  // 0000000096E4: D1010006 0001E506
	v_add_f32_e64 v7, v7, 1.0                                  // 0000000096EC: D1010007 0001E507
	v_rcp_f32_e32 v4, v4                                       // 0000000096F4: 7E084504
	v_rcp_f32_e32 v5, v5                                       // 0000000096F8: 7E0A4505
	v_rcp_f32_e32 v6, v6                                       // 0000000096FC: 7E0C4506
	v_rcp_f32_e32 v7, v7                                       // 000000009700: 7E0E4507
	v_mul_f32_e32 v108, v108, v4                               // 000000009704: 0AD8096C
	v_mul_f32_e32 v109, v109, v5                               // 000000009708: 0ADA0B6D
	v_mul_f32_e32 v110, v110, v6                               // 00000000970C: 0ADC0D6E
	v_mul_f32_e32 v111, v111, v7                               // 000000009710: 0ADE0F6F
	v_mul_f32_e32 v108, v108, v172                             // 000000009714: 0AD9596C
	v_mul_f32_e32 v109, v109, v173                             // 000000009718: 0ADB5B6D
	v_mul_f32_e32 v110, v110, v174                             // 00000000971C: 0ADD5D6E
	v_mul_f32_e32 v111, v111, v175                             // 000000009720: 0ADF5F6F
	v_mul_f32_e64 v4, -v112, s6                                // 000000009724: D1050004 20000D70
	v_mul_f32_e64 v5, -v113, s6                                // 00000000972C: D1050005 20000D71
	v_mul_f32_e64 v6, -v114, s6                                // 000000009734: D1050006 20000D72
	v_mul_f32_e64 v7, -v115, s6                                // 00000000973C: D1050007 20000D73
	v_exp_f32_e32 v4, v4                                       // 000000009744: 7E084104
	v_exp_f32_e32 v5, v5                                       // 000000009748: 7E0A4105
	v_exp_f32_e32 v6, v6                                       // 00000000974C: 7E0C4106
	v_exp_f32_e32 v7, v7                                       // 000000009750: 7E0E4107
	v_add_f32_e64 v4, v4, 1.0                                  // 000000009754: D1010004 0001E504
	v_add_f32_e64 v5, v5, 1.0                                  // 00000000975C: D1010005 0001E505
	v_add_f32_e64 v6, v6, 1.0                                  // 000000009764: D1010006 0001E506
	v_add_f32_e64 v7, v7, 1.0                                  // 00000000976C: D1010007 0001E507
	v_rcp_f32_e32 v4, v4                                       // 000000009774: 7E084504
	v_rcp_f32_e32 v5, v5                                       // 000000009778: 7E0A4505
	v_rcp_f32_e32 v6, v6                                       // 00000000977C: 7E0C4506
	v_rcp_f32_e32 v7, v7                                       // 000000009780: 7E0E4507
	v_mul_f32_e32 v112, v112, v4                               // 000000009784: 0AE00970
	v_mul_f32_e32 v113, v113, v5                               // 000000009788: 0AE20B71
	v_mul_f32_e32 v114, v114, v6                               // 00000000978C: 0AE40D72
	v_mul_f32_e32 v115, v115, v7                               // 000000009790: 0AE60F73
	v_mul_f32_e32 v112, v112, v176                             // 000000009794: 0AE16170
	v_mul_f32_e32 v113, v113, v177                             // 000000009798: 0AE36371
	v_mul_f32_e32 v114, v114, v178                             // 00000000979C: 0AE56572
	v_mul_f32_e32 v115, v115, v179                             // 0000000097A0: 0AE76773

00000000000097a4 <label_1B6C>:
	v_cmp_u_f32_e64 s[46:47], v52, v52                         // 0000000097A4: D048002E 00026934
	v_add3_u32 v16, v52, v19, 1                                // 0000000097AC: D1FF0010 02062734
	v_cndmask_b32_e64 v4, v16, v18, s[46:47]                   // 0000000097B4: D1000004 00BA2510
	v_cmp_u_f32_e64 s[46:47], v53, v53                         // 0000000097BC: D048002E 00026B35
	v_add3_u32 v16, v53, v19, 1                                // 0000000097C4: D1FF0010 02062735
	v_cndmask_b32_e64 v5, v16, v18, s[46:47]                   // 0000000097CC: D1000005 00BA2510
	v_perm_b32 v52, v5, v4, s52                                // 0000000097D4: D1ED0034 00D20905
	v_cmp_u_f32_e64 s[46:47], v54, v54                         // 0000000097DC: D048002E 00026D36
	v_add3_u32 v16, v54, v19, 1                                // 0000000097E4: D1FF0010 02062736
	v_cndmask_b32_e64 v4, v16, v18, s[46:47]                   // 0000000097EC: D1000004 00BA2510
	v_cmp_u_f32_e64 s[46:47], v55, v55                         // 0000000097F4: D048002E 00026F37
	v_add3_u32 v16, v55, v19, 1                                // 0000000097FC: D1FF0010 02062737
	v_cndmask_b32_e64 v5, v16, v18, s[46:47]                   // 000000009804: D1000005 00BA2510
	v_perm_b32 v53, v5, v4, s52                                // 00000000980C: D1ED0035 00D20905
	v_cmp_u_f32_e64 s[46:47], v56, v56                         // 000000009814: D048002E 00027138
	v_add3_u32 v16, v56, v19, 1                                // 00000000981C: D1FF0010 02062738
	v_cndmask_b32_e64 v4, v16, v18, s[46:47]                   // 000000009824: D1000004 00BA2510
	v_cmp_u_f32_e64 s[46:47], v57, v57                         // 00000000982C: D048002E 00027339
	v_add3_u32 v16, v57, v19, 1                                // 000000009834: D1FF0010 02062739
	v_cndmask_b32_e64 v5, v16, v18, s[46:47]                   // 00000000983C: D1000005 00BA2510
	v_perm_b32 v54, v5, v4, s52                                // 000000009844: D1ED0036 00D20905
	v_cmp_u_f32_e64 s[46:47], v58, v58                         // 00000000984C: D048002E 0002753A
	v_add3_u32 v16, v58, v19, 1                                // 000000009854: D1FF0010 0206273A
	v_cndmask_b32_e64 v4, v16, v18, s[46:47]                   // 00000000985C: D1000004 00BA2510
	v_cmp_u_f32_e64 s[46:47], v59, v59                         // 000000009864: D048002E 0002773B
	v_add3_u32 v16, v59, v19, 1                                // 00000000986C: D1FF0010 0206273B
	v_cndmask_b32_e64 v5, v16, v18, s[46:47]                   // 000000009874: D1000005 00BA2510
	v_perm_b32 v55, v5, v4, s52                                // 00000000987C: D1ED0037 00D20905
	v_cmp_u_f32_e64 s[46:47], v60, v60                         // 000000009884: D048002E 0002793C
	v_add3_u32 v16, v60, v19, 1                                // 00000000988C: D1FF0010 0206273C
	v_cndmask_b32_e64 v4, v16, v18, s[46:47]                   // 000000009894: D1000004 00BA2510
	v_cmp_u_f32_e64 s[46:47], v61, v61                         // 00000000989C: D048002E 00027B3D
	v_add3_u32 v16, v61, v19, 1                                // 0000000098A4: D1FF0010 0206273D
	v_cndmask_b32_e64 v5, v16, v18, s[46:47]                   // 0000000098AC: D1000005 00BA2510
	v_perm_b32 v56, v5, v4, s52                                // 0000000098B4: D1ED0038 00D20905
	v_cmp_u_f32_e64 s[46:47], v62, v62                         // 0000000098BC: D048002E 00027D3E
	v_add3_u32 v16, v62, v19, 1                                // 0000000098C4: D1FF0010 0206273E
	v_cndmask_b32_e64 v4, v16, v18, s[46:47]                   // 0000000098CC: D1000004 00BA2510
	v_cmp_u_f32_e64 s[46:47], v63, v63                         // 0000000098D4: D048002E 00027F3F
	v_add3_u32 v16, v63, v19, 1                                // 0000000098DC: D1FF0010 0206273F
	v_cndmask_b32_e64 v5, v16, v18, s[46:47]                   // 0000000098E4: D1000005 00BA2510
	v_perm_b32 v57, v5, v4, s52                                // 0000000098EC: D1ED0039 00D20905
	v_cmp_u_f32_e64 s[46:47], v64, v64                         // 0000000098F4: D048002E 00028140
	v_add3_u32 v16, v64, v19, 1                                // 0000000098FC: D1FF0010 02062740
	v_cndmask_b32_e64 v4, v16, v18, s[46:47]                   // 000000009904: D1000004 00BA2510
	v_cmp_u_f32_e64 s[46:47], v65, v65                         // 00000000990C: D048002E 00028341
	v_add3_u32 v16, v65, v19, 1                                // 000000009914: D1FF0010 02062741
	v_cndmask_b32_e64 v5, v16, v18, s[46:47]                   // 00000000991C: D1000005 00BA2510
	v_perm_b32 v58, v5, v4, s52                                // 000000009924: D1ED003A 00D20905
	v_cmp_u_f32_e64 s[46:47], v66, v66                         // 00000000992C: D048002E 00028542
	v_add3_u32 v16, v66, v19, 1                                // 000000009934: D1FF0010 02062742
	v_cndmask_b32_e64 v4, v16, v18, s[46:47]                   // 00000000993C: D1000004 00BA2510
	v_cmp_u_f32_e64 s[46:47], v67, v67                         // 000000009944: D048002E 00028743
	v_add3_u32 v16, v67, v19, 1                                // 00000000994C: D1FF0010 02062743
	v_cndmask_b32_e64 v5, v16, v18, s[46:47]                   // 000000009954: D1000005 00BA2510
	v_perm_b32 v59, v5, v4, s52                                // 00000000995C: D1ED003B 00D20905
	v_cmp_u_f32_e64 s[46:47], v68, v68                         // 000000009964: D048002E 00028944
	v_add3_u32 v16, v68, v19, 1                                // 00000000996C: D1FF0010 02062744
	v_cndmask_b32_e64 v4, v16, v18, s[46:47]                   // 000000009974: D1000004 00BA2510
	v_cmp_u_f32_e64 s[46:47], v69, v69                         // 00000000997C: D048002E 00028B45
	v_add3_u32 v16, v69, v19, 1                                // 000000009984: D1FF0010 02062745
	v_cndmask_b32_e64 v5, v16, v18, s[46:47]                   // 00000000998C: D1000005 00BA2510
	v_perm_b32 v60, v5, v4, s52                                // 000000009994: D1ED003C 00D20905
	v_cmp_u_f32_e64 s[46:47], v70, v70                         // 00000000999C: D048002E 00028D46
	v_add3_u32 v16, v70, v19, 1                                // 0000000099A4: D1FF0010 02062746
	v_cndmask_b32_e64 v4, v16, v18, s[46:47]                   // 0000000099AC: D1000004 00BA2510
	v_cmp_u_f32_e64 s[46:47], v71, v71                         // 0000000099B4: D048002E 00028F47
	v_add3_u32 v16, v71, v19, 1                                // 0000000099BC: D1FF0010 02062747
	v_cndmask_b32_e64 v5, v16, v18, s[46:47]                   // 0000000099C4: D1000005 00BA2510
	v_perm_b32 v61, v5, v4, s52                                // 0000000099CC: D1ED003D 00D20905
	v_cmp_u_f32_e64 s[46:47], v72, v72                         // 0000000099D4: D048002E 00029148
	v_add3_u32 v16, v72, v19, 1                                // 0000000099DC: D1FF0010 02062748
	v_cndmask_b32_e64 v4, v16, v18, s[46:47]                   // 0000000099E4: D1000004 00BA2510
	v_cmp_u_f32_e64 s[46:47], v73, v73                         // 0000000099EC: D048002E 00029349
	v_add3_u32 v16, v73, v19, 1                                // 0000000099F4: D1FF0010 02062749
	v_cndmask_b32_e64 v5, v16, v18, s[46:47]                   // 0000000099FC: D1000005 00BA2510
	v_perm_b32 v62, v5, v4, s52                                // 000000009A04: D1ED003E 00D20905
	v_cmp_u_f32_e64 s[46:47], v74, v74                         // 000000009A0C: D048002E 0002954A
	v_add3_u32 v16, v74, v19, 1                                // 000000009A14: D1FF0010 0206274A
	v_cndmask_b32_e64 v4, v16, v18, s[46:47]                   // 000000009A1C: D1000004 00BA2510
	v_cmp_u_f32_e64 s[46:47], v75, v75                         // 000000009A24: D048002E 0002974B
	v_add3_u32 v16, v75, v19, 1                                // 000000009A2C: D1FF0010 0206274B
	v_cndmask_b32_e64 v5, v16, v18, s[46:47]                   // 000000009A34: D1000005 00BA2510
	v_perm_b32 v63, v5, v4, s52                                // 000000009A3C: D1ED003F 00D20905
	v_cmp_u_f32_e64 s[46:47], v76, v76                         // 000000009A44: D048002E 0002994C
	v_add3_u32 v16, v76, v19, 1                                // 000000009A4C: D1FF0010 0206274C
	v_cndmask_b32_e64 v4, v16, v18, s[46:47]                   // 000000009A54: D1000004 00BA2510
	v_cmp_u_f32_e64 s[46:47], v77, v77                         // 000000009A5C: D048002E 00029B4D
	v_add3_u32 v16, v77, v19, 1                                // 000000009A64: D1FF0010 0206274D
	v_cndmask_b32_e64 v5, v16, v18, s[46:47]                   // 000000009A6C: D1000005 00BA2510
	v_perm_b32 v64, v5, v4, s52                                // 000000009A74: D1ED0040 00D20905
	v_cmp_u_f32_e64 s[46:47], v78, v78                         // 000000009A7C: D048002E 00029D4E
	v_add3_u32 v16, v78, v19, 1                                // 000000009A84: D1FF0010 0206274E
	v_cndmask_b32_e64 v4, v16, v18, s[46:47]                   // 000000009A8C: D1000004 00BA2510
	v_cmp_u_f32_e64 s[46:47], v79, v79                         // 000000009A94: D048002E 00029F4F
	v_add3_u32 v16, v79, v19, 1                                // 000000009A9C: D1FF0010 0206274F
	v_cndmask_b32_e64 v5, v16, v18, s[46:47]                   // 000000009AA4: D1000005 00BA2510
	v_perm_b32 v65, v5, v4, s52                                // 000000009AAC: D1ED0041 00D20905
	v_cmp_u_f32_e64 s[46:47], v80, v80                         // 000000009AB4: D048002E 0002A150
	v_add3_u32 v16, v80, v19, 1                                // 000000009ABC: D1FF0010 02062750
	v_cndmask_b32_e64 v4, v16, v18, s[46:47]                   // 000000009AC4: D1000004 00BA2510
	v_cmp_u_f32_e64 s[46:47], v81, v81                         // 000000009ACC: D048002E 0002A351
	v_add3_u32 v16, v81, v19, 1                                // 000000009AD4: D1FF0010 02062751
	v_cndmask_b32_e64 v5, v16, v18, s[46:47]                   // 000000009ADC: D1000005 00BA2510
	v_perm_b32 v66, v5, v4, s52                                // 000000009AE4: D1ED0042 00D20905
	v_cmp_u_f32_e64 s[46:47], v82, v82                         // 000000009AEC: D048002E 0002A552
	v_add3_u32 v16, v82, v19, 1                                // 000000009AF4: D1FF0010 02062752
	v_cndmask_b32_e64 v4, v16, v18, s[46:47]                   // 000000009AFC: D1000004 00BA2510
	v_cmp_u_f32_e64 s[46:47], v83, v83                         // 000000009B04: D048002E 0002A753
	v_add3_u32 v16, v83, v19, 1                                // 000000009B0C: D1FF0010 02062753
	v_cndmask_b32_e64 v5, v16, v18, s[46:47]                   // 000000009B14: D1000005 00BA2510
	v_perm_b32 v67, v5, v4, s52                                // 000000009B1C: D1ED0043 00D20905
	v_cmp_u_f32_e64 s[46:47], v84, v84                         // 000000009B24: D048002E 0002A954
	v_add3_u32 v16, v84, v19, 1                                // 000000009B2C: D1FF0010 02062754
	v_cndmask_b32_e64 v4, v16, v18, s[46:47]                   // 000000009B34: D1000004 00BA2510
	v_cmp_u_f32_e64 s[46:47], v85, v85                         // 000000009B3C: D048002E 0002AB55
	v_add3_u32 v16, v85, v19, 1                                // 000000009B44: D1FF0010 02062755
	v_cndmask_b32_e64 v5, v16, v18, s[46:47]                   // 000000009B4C: D1000005 00BA2510
	v_perm_b32 v68, v5, v4, s52                                // 000000009B54: D1ED0044 00D20905
	v_cmp_u_f32_e64 s[46:47], v86, v86                         // 000000009B5C: D048002E 0002AD56
	v_add3_u32 v16, v86, v19, 1                                // 000000009B64: D1FF0010 02062756
	v_cndmask_b32_e64 v4, v16, v18, s[46:47]                   // 000000009B6C: D1000004 00BA2510
	v_cmp_u_f32_e64 s[46:47], v87, v87                         // 000000009B74: D048002E 0002AF57
	v_add3_u32 v16, v87, v19, 1                                // 000000009B7C: D1FF0010 02062757
	v_cndmask_b32_e64 v5, v16, v18, s[46:47]                   // 000000009B84: D1000005 00BA2510
	v_perm_b32 v69, v5, v4, s52                                // 000000009B8C: D1ED0045 00D20905
	v_cmp_u_f32_e64 s[46:47], v88, v88                         // 000000009B94: D048002E 0002B158
	v_add3_u32 v16, v88, v19, 1                                // 000000009B9C: D1FF0010 02062758
	v_cndmask_b32_e64 v4, v16, v18, s[46:47]                   // 000000009BA4: D1000004 00BA2510
	v_cmp_u_f32_e64 s[46:47], v89, v89                         // 000000009BAC: D048002E 0002B359
	v_add3_u32 v16, v89, v19, 1                                // 000000009BB4: D1FF0010 02062759
	v_cndmask_b32_e64 v5, v16, v18, s[46:47]                   // 000000009BBC: D1000005 00BA2510
	v_perm_b32 v70, v5, v4, s52                                // 000000009BC4: D1ED0046 00D20905
	v_cmp_u_f32_e64 s[46:47], v90, v90                         // 000000009BCC: D048002E 0002B55A
	v_add3_u32 v16, v90, v19, 1                                // 000000009BD4: D1FF0010 0206275A
	v_cndmask_b32_e64 v4, v16, v18, s[46:47]                   // 000000009BDC: D1000004 00BA2510
	v_cmp_u_f32_e64 s[46:47], v91, v91                         // 000000009BE4: D048002E 0002B75B
	v_add3_u32 v16, v91, v19, 1                                // 000000009BEC: D1FF0010 0206275B
	v_cndmask_b32_e64 v5, v16, v18, s[46:47]                   // 000000009BF4: D1000005 00BA2510
	v_perm_b32 v71, v5, v4, s52                                // 000000009BFC: D1ED0047 00D20905
	v_cmp_u_f32_e64 s[46:47], v92, v92                         // 000000009C04: D048002E 0002B95C
	v_add3_u32 v16, v92, v19, 1                                // 000000009C0C: D1FF0010 0206275C
	v_cndmask_b32_e64 v4, v16, v18, s[46:47]                   // 000000009C14: D1000004 00BA2510
	v_cmp_u_f32_e64 s[46:47], v93, v93                         // 000000009C1C: D048002E 0002BB5D
	v_add3_u32 v16, v93, v19, 1                                // 000000009C24: D1FF0010 0206275D
	v_cndmask_b32_e64 v5, v16, v18, s[46:47]                   // 000000009C2C: D1000005 00BA2510
	v_perm_b32 v72, v5, v4, s52                                // 000000009C34: D1ED0048 00D20905
	v_cmp_u_f32_e64 s[46:47], v94, v94                         // 000000009C3C: D048002E 0002BD5E
	v_add3_u32 v16, v94, v19, 1                                // 000000009C44: D1FF0010 0206275E
	v_cndmask_b32_e64 v4, v16, v18, s[46:47]                   // 000000009C4C: D1000004 00BA2510
	v_cmp_u_f32_e64 s[46:47], v95, v95                         // 000000009C54: D048002E 0002BF5F
	v_add3_u32 v16, v95, v19, 1                                // 000000009C5C: D1FF0010 0206275F
	v_cndmask_b32_e64 v5, v16, v18, s[46:47]                   // 000000009C64: D1000005 00BA2510
	v_perm_b32 v73, v5, v4, s52                                // 000000009C6C: D1ED0049 00D20905
	v_cmp_u_f32_e64 s[46:47], v96, v96                         // 000000009C74: D048002E 0002C160
	v_add3_u32 v16, v96, v19, 1                                // 000000009C7C: D1FF0010 02062760
	v_cndmask_b32_e64 v4, v16, v18, s[46:47]                   // 000000009C84: D1000004 00BA2510
	v_cmp_u_f32_e64 s[46:47], v97, v97                         // 000000009C8C: D048002E 0002C361
	v_add3_u32 v16, v97, v19, 1                                // 000000009C94: D1FF0010 02062761
	v_cndmask_b32_e64 v5, v16, v18, s[46:47]                   // 000000009C9C: D1000005 00BA2510
	v_perm_b32 v74, v5, v4, s52                                // 000000009CA4: D1ED004A 00D20905
	v_cmp_u_f32_e64 s[46:47], v98, v98                         // 000000009CAC: D048002E 0002C562
	v_add3_u32 v16, v98, v19, 1                                // 000000009CB4: D1FF0010 02062762
	v_cndmask_b32_e64 v4, v16, v18, s[46:47]                   // 000000009CBC: D1000004 00BA2510
	v_cmp_u_f32_e64 s[46:47], v99, v99                         // 000000009CC4: D048002E 0002C763
	v_add3_u32 v16, v99, v19, 1                                // 000000009CCC: D1FF0010 02062763
	v_cndmask_b32_e64 v5, v16, v18, s[46:47]                   // 000000009CD4: D1000005 00BA2510
	v_perm_b32 v75, v5, v4, s52                                // 000000009CDC: D1ED004B 00D20905
	v_cmp_u_f32_e64 s[46:47], v100, v100                       // 000000009CE4: D048002E 0002C964
	v_add3_u32 v16, v100, v19, 1                               // 000000009CEC: D1FF0010 02062764
	v_cndmask_b32_e64 v4, v16, v18, s[46:47]                   // 000000009CF4: D1000004 00BA2510
	v_cmp_u_f32_e64 s[46:47], v101, v101                       // 000000009CFC: D048002E 0002CB65
	v_add3_u32 v16, v101, v19, 1                               // 000000009D04: D1FF0010 02062765
	v_cndmask_b32_e64 v5, v16, v18, s[46:47]                   // 000000009D0C: D1000005 00BA2510
	v_perm_b32 v76, v5, v4, s52                                // 000000009D14: D1ED004C 00D20905
	v_cmp_u_f32_e64 s[46:47], v102, v102                       // 000000009D1C: D048002E 0002CD66
	v_add3_u32 v16, v102, v19, 1                               // 000000009D24: D1FF0010 02062766
	v_cndmask_b32_e64 v4, v16, v18, s[46:47]                   // 000000009D2C: D1000004 00BA2510
	v_cmp_u_f32_e64 s[46:47], v103, v103                       // 000000009D34: D048002E 0002CF67
	v_add3_u32 v16, v103, v19, 1                               // 000000009D3C: D1FF0010 02062767
	v_cndmask_b32_e64 v5, v16, v18, s[46:47]                   // 000000009D44: D1000005 00BA2510
	v_perm_b32 v77, v5, v4, s52                                // 000000009D4C: D1ED004D 00D20905
	v_cmp_u_f32_e64 s[46:47], v104, v104                       // 000000009D54: D048002E 0002D168
	v_add3_u32 v16, v104, v19, 1                               // 000000009D5C: D1FF0010 02062768
	v_cndmask_b32_e64 v4, v16, v18, s[46:47]                   // 000000009D64: D1000004 00BA2510
	v_cmp_u_f32_e64 s[46:47], v105, v105                       // 000000009D6C: D048002E 0002D369
	v_add3_u32 v16, v105, v19, 1                               // 000000009D74: D1FF0010 02062769
	v_cndmask_b32_e64 v5, v16, v18, s[46:47]                   // 000000009D7C: D1000005 00BA2510
	v_perm_b32 v78, v5, v4, s52                                // 000000009D84: D1ED004E 00D20905
	v_cmp_u_f32_e64 s[46:47], v106, v106                       // 000000009D8C: D048002E 0002D56A
	v_add3_u32 v16, v106, v19, 1                               // 000000009D94: D1FF0010 0206276A
	v_cndmask_b32_e64 v4, v16, v18, s[46:47]                   // 000000009D9C: D1000004 00BA2510
	v_cmp_u_f32_e64 s[46:47], v107, v107                       // 000000009DA4: D048002E 0002D76B
	v_add3_u32 v16, v107, v19, 1                               // 000000009DAC: D1FF0010 0206276B
	v_cndmask_b32_e64 v5, v16, v18, s[46:47]                   // 000000009DB4: D1000005 00BA2510
	v_perm_b32 v79, v5, v4, s52                                // 000000009DBC: D1ED004F 00D20905
	v_cmp_u_f32_e64 s[46:47], v108, v108                       // 000000009DC4: D048002E 0002D96C
	v_add3_u32 v16, v108, v19, 1                               // 000000009DCC: D1FF0010 0206276C
	v_cndmask_b32_e64 v4, v16, v18, s[46:47]                   // 000000009DD4: D1000004 00BA2510
	v_cmp_u_f32_e64 s[46:47], v109, v109                       // 000000009DDC: D048002E 0002DB6D
	v_add3_u32 v16, v109, v19, 1                               // 000000009DE4: D1FF0010 0206276D
	v_cndmask_b32_e64 v5, v16, v18, s[46:47]                   // 000000009DEC: D1000005 00BA2510
	v_perm_b32 v80, v5, v4, s52                                // 000000009DF4: D1ED0050 00D20905
	v_cmp_u_f32_e64 s[46:47], v110, v110                       // 000000009DFC: D048002E 0002DD6E
	v_add3_u32 v16, v110, v19, 1                               // 000000009E04: D1FF0010 0206276E
	v_cndmask_b32_e64 v4, v16, v18, s[46:47]                   // 000000009E0C: D1000004 00BA2510
	v_cmp_u_f32_e64 s[46:47], v111, v111                       // 000000009E14: D048002E 0002DF6F
	v_add3_u32 v16, v111, v19, 1                               // 000000009E1C: D1FF0010 0206276F
	v_cndmask_b32_e64 v5, v16, v18, s[46:47]                   // 000000009E24: D1000005 00BA2510
	v_perm_b32 v81, v5, v4, s52                                // 000000009E2C: D1ED0051 00D20905
	v_cmp_u_f32_e64 s[46:47], v112, v112                       // 000000009E34: D048002E 0002E170
	v_add3_u32 v16, v112, v19, 1                               // 000000009E3C: D1FF0010 02062770
	v_cndmask_b32_e64 v4, v16, v18, s[46:47]                   // 000000009E44: D1000004 00BA2510
	v_cmp_u_f32_e64 s[46:47], v113, v113                       // 000000009E4C: D048002E 0002E371
	v_add3_u32 v16, v113, v19, 1                               // 000000009E54: D1FF0010 02062771
	v_cndmask_b32_e64 v5, v16, v18, s[46:47]                   // 000000009E5C: D1000005 00BA2510
	v_perm_b32 v82, v5, v4, s52                                // 000000009E64: D1ED0052 00D20905
	v_cmp_u_f32_e64 s[46:47], v114, v114                       // 000000009E6C: D048002E 0002E572
	v_add3_u32 v16, v114, v19, 1                               // 000000009E74: D1FF0010 02062772
	v_cndmask_b32_e64 v4, v16, v18, s[46:47]                   // 000000009E7C: D1000004 00BA2510
	v_cmp_u_f32_e64 s[46:47], v115, v115                       // 000000009E84: D048002E 0002E773
	v_add3_u32 v16, v115, v19, 1                               // 000000009E8C: D1FF0010 02062773
	v_cndmask_b32_e64 v5, v16, v18, s[46:47]                   // 000000009E94: D1000005 00BA2510
	v_perm_b32 v83, v5, v4, s52                                // 000000009E9C: D1ED0053 00D20905
	ds_write_b64 v20, v[52:53]                                 // 000000009EA4: D89A0000 00003414
	ds_write_b64 v20, v[54:55] offset:17408                    // 000000009EAC: D89A4400 00003614
	ds_write_b64 v20, v[56:57] offset:2176                     // 000000009EB4: D89A0880 00003814
	ds_write_b64 v20, v[58:59] offset:19584                    // 000000009EBC: D89A4C80 00003A14
	ds_write_b64 v20, v[60:61] offset:4352                     // 000000009EC4: D89A1100 00003C14
	ds_write_b64 v20, v[62:63] offset:21760                    // 000000009ECC: D89A5500 00003E14
	ds_write_b64 v20, v[64:65] offset:6528                     // 000000009ED4: D89A1980 00004014
	ds_write_b64 v20, v[66:67] offset:23936                    // 000000009EDC: D89A5D80 00004214
	ds_write_b64 v20, v[68:69] offset:8704                     // 000000009EE4: D89A2200 00004414
	ds_write_b64 v20, v[70:71] offset:26112                    // 000000009EEC: D89A6600 00004614
	ds_write_b64 v20, v[72:73] offset:10880                    // 000000009EF4: D89A2A80 00004814
	ds_write_b64 v20, v[74:75] offset:28288                    // 000000009EFC: D89A6E80 00004A14
	ds_write_b64 v20, v[76:77] offset:13056                    // 000000009F04: D89A3300 00004C14
	ds_write_b64 v20, v[78:79] offset:30464                    // 000000009F0C: D89A7700 00004E14
	ds_write_b64 v20, v[80:81] offset:15232                    // 000000009F14: D89A3B80 00005014
	ds_write_b64 v20, v[82:83] offset:32640                    // 000000009F1C: D89A7F80 00005214
	v_lshrrev_b32_e32 v4, 5, v0                                // 000000009F24: 20080085
	v_xor_b32_e32 v5, 1, v4                                    // 000000009F28: 2A0A0881
	s_mul_i32 s60, s65, 2                                      // 000000009F2C: 923C8241
	s_cmp_eq_u32 s88, 0                                        // 000000009F30: BF068058
	s_cselect_b32 s61, 1, 4                                    // 000000009F34: 853D8481
	s_mul_i32 s60, s61, s60                                    // 000000009F38: 923C3C3D
	v_readlane_b32 s82, v3, 0                                  // 000000009F3C: D2890052 00010103
	s_lshr_b32 s61, s82, 24                                    // 000000009F44: 8F3D9852
	s_and_b32 s82, s82, 0xffffff                               // 000000009F48: 8652FF52 00FFFFFF
	s_mul_i32 s82, s82, s71                                    // 000000009F50: 92524752
	s_mul_i32 s61, s60, s61                                    // 000000009F54: 923D3D3C
	s_add_u32 s82, s82, s61                                    // 000000009F58: 80523D52
	v_mul_lo_u32 v6, v5, s82                                   // 000000009F5C: D2850006 0000A505
	v_readlane_b32 s82, v3, 1                                  // 000000009F64: D2890052 00010303
	s_lshr_b32 s61, s82, 24                                    // 000000009F6C: 8F3D9852
	s_and_b32 s82, s82, 0xffffff                               // 000000009F70: 8652FF52 00FFFFFF
	s_mul_i32 s82, s82, s71                                    // 000000009F78: 92524752
	s_mul_i32 s61, s60, s61                                    // 000000009F7C: 923D3D3C
	s_add_u32 s82, s82, s61                                    // 000000009F80: 80523D52
	v_mul_lo_u32 v7, v4, s82                                   // 000000009F84: D2850007 0000A504
	v_add_u32_e32 v37, v6, v7                                  // 000000009F8C: 684A0F06
	v_readlane_b32 s82, v3, 2                                  // 000000009F90: D2890052 00010503
	s_lshr_b32 s61, s82, 24                                    // 000000009F98: 8F3D9852
	s_and_b32 s82, s82, 0xffffff                               // 000000009F9C: 8652FF52 00FFFFFF
	s_mul_i32 s82, s82, s71                                    // 000000009FA4: 92524752
	s_mul_i32 s61, s60, s61                                    // 000000009FA8: 923D3D3C
	s_add_u32 s82, s82, s61                                    // 000000009FAC: 80523D52
	v_mul_lo_u32 v6, v5, s82                                   // 000000009FB0: D2850006 0000A505
	v_readlane_b32 s82, v3, 3                                  // 000000009FB8: D2890052 00010703
	s_lshr_b32 s61, s82, 24                                    // 000000009FC0: 8F3D9852
	s_and_b32 s82, s82, 0xffffff                               // 000000009FC4: 8652FF52 00FFFFFF
	s_mul_i32 s82, s82, s71                                    // 000000009FCC: 92524752
	s_mul_i32 s61, s60, s61                                    // 000000009FD0: 923D3D3C
	s_add_u32 s82, s82, s61                                    // 000000009FD4: 80523D52
	v_mul_lo_u32 v7, v4, s82                                   // 000000009FD8: D2850007 0000A504
	v_add_u32_e32 v38, v6, v7                                  // 000000009FE0: 684C0F06
	v_readlane_b32 s82, v3, 4                                  // 000000009FE4: D2890052 00010903
	s_lshr_b32 s61, s82, 24                                    // 000000009FEC: 8F3D9852
	s_and_b32 s82, s82, 0xffffff                               // 000000009FF0: 8652FF52 00FFFFFF
	s_mul_i32 s82, s82, s71                                    // 000000009FF8: 92524752
	s_mul_i32 s61, s60, s61                                    // 000000009FFC: 923D3D3C
	s_add_u32 s82, s82, s61                                    // 00000000A000: 80523D52
	v_mul_lo_u32 v6, v5, s82                                   // 00000000A004: D2850006 0000A505
	v_readlane_b32 s82, v3, 5                                  // 00000000A00C: D2890052 00010B03
	s_lshr_b32 s61, s82, 24                                    // 00000000A014: 8F3D9852
	s_and_b32 s82, s82, 0xffffff                               // 00000000A018: 8652FF52 00FFFFFF
	s_mul_i32 s82, s82, s71                                    // 00000000A020: 92524752
	s_mul_i32 s61, s60, s61                                    // 00000000A024: 923D3D3C
	s_add_u32 s82, s82, s61                                    // 00000000A028: 80523D52
	v_mul_lo_u32 v7, v4, s82                                   // 00000000A02C: D2850007 0000A504
	v_add_u32_e32 v39, v6, v7                                  // 00000000A034: 684E0F06
	v_readlane_b32 s82, v3, 6                                  // 00000000A038: D2890052 00010D03
	s_lshr_b32 s61, s82, 24                                    // 00000000A040: 8F3D9852
	s_and_b32 s82, s82, 0xffffff                               // 00000000A044: 8652FF52 00FFFFFF
	s_mul_i32 s82, s82, s71                                    // 00000000A04C: 92524752
	s_mul_i32 s61, s60, s61                                    // 00000000A050: 923D3D3C
	s_add_u32 s82, s82, s61                                    // 00000000A054: 80523D52
	v_mul_lo_u32 v6, v5, s82                                   // 00000000A058: D2850006 0000A505
	v_readlane_b32 s82, v3, 7                                  // 00000000A060: D2890052 00010F03
	s_lshr_b32 s61, s82, 24                                    // 00000000A068: 8F3D9852
	s_and_b32 s82, s82, 0xffffff                               // 00000000A06C: 8652FF52 00FFFFFF
	s_mul_i32 s82, s82, s71                                    // 00000000A074: 92524752
	s_mul_i32 s61, s60, s61                                    // 00000000A078: 923D3D3C
	s_add_u32 s82, s82, s61                                    // 00000000A07C: 80523D52
	v_mul_lo_u32 v7, v4, s82                                   // 00000000A080: D2850007 0000A504
	v_add_u32_e32 v40, v6, v7                                  // 00000000A088: 68500F06
	v_and_b32_e32 v4, 31, v0                                   // 00000000A08C: 2608009F
	v_lshrrev_b32_e32 v4, 1, v4                                // 00000000A090: 20080881
	s_cmp_eq_u32 s88, 0                                        // 00000000A094: BF068058
	s_cselect_b32 s61, 2, 4                                    // 00000000A098: 853D8482
	v_mul_lo_u32 v4, v4, s61                                   // 00000000A09C: D2850004 00007B04
	v_and_b32_e64 v5, v0, 1                                    // 00000000A0A4: D1130005 00010300
	v_add_u32_e32 v4, v4, v5                                   // 00000000A0AC: 68080B04
	v_lshlrev_b32_e32 v4, 2, v4                                // 00000000A0B0: 24080882
	v_add_u32_e32 v37, v37, v4                                 // 00000000A0B4: 684A0925
	v_add_u32_e32 v38, v38, v4                                 // 00000000A0B8: 684C0926
	v_add_u32_e32 v39, v39, v4                                 // 00000000A0BC: 684E0927
	v_add_u32_e32 v40, v40, v4                                 // 00000000A0C0: 68500928
	s_waitcnt lgkmcnt(0)                                       // 00000000A0C4: BF8CC07F
	s_barrier                                                  // 00000000A0C8: BF8A0000
	ds_read_b32 v52, v21                                       // 00000000A0CC: D86C0000 34000015
	ds_read_b32 v53, v21 offset:64                             // 00000000A0D4: D86C0040 35000015
	ds_read_b32 v54, v21 offset:2176                           // 00000000A0DC: D86C0880 36000015
	ds_read_b32 v55, v21 offset:2240                           // 00000000A0E4: D86C08C0 37000015
	ds_read_b32 v56, v21 offset:4352                           // 00000000A0EC: D86C1100 38000015
	ds_read_b32 v57, v21 offset:4416                           // 00000000A0F4: D86C1140 39000015
	ds_read_b32 v58, v21 offset:6528                           // 00000000A0FC: D86C1980 3A000015
	ds_read_b32 v59, v21 offset:6592                           // 00000000A104: D86C19C0 3B000015
	ds_read_b32 v60, v21 offset:8704                           // 00000000A10C: D86C2200 3C000015
	ds_read_b32 v61, v21 offset:8768                           // 00000000A114: D86C2240 3D000015
	ds_read_b32 v62, v21 offset:10880                          // 00000000A11C: D86C2A80 3E000015
	ds_read_b32 v63, v21 offset:10944                          // 00000000A124: D86C2AC0 3F000015
	ds_read_b32 v64, v21 offset:13056                          // 00000000A12C: D86C3300 40000015
	ds_read_b32 v65, v21 offset:13120                          // 00000000A134: D86C3340 41000015
	ds_read_b32 v66, v21 offset:15232                          // 00000000A13C: D86C3B80 42000015
	ds_read_b32 v67, v21 offset:15296                          // 00000000A144: D86C3BC0 43000015
	ds_read_b32 v68, v21 offset:17408                          // 00000000A14C: D86C4400 44000015
	ds_read_b32 v69, v21 offset:17472                          // 00000000A154: D86C4440 45000015
	ds_read_b32 v70, v21 offset:19584                          // 00000000A15C: D86C4C80 46000015
	ds_read_b32 v71, v21 offset:19648                          // 00000000A164: D86C4CC0 47000015
	ds_read_b32 v72, v21 offset:21760                          // 00000000A16C: D86C5500 48000015
	ds_read_b32 v73, v21 offset:21824                          // 00000000A174: D86C5540 49000015
	ds_read_b32 v74, v21 offset:23936                          // 00000000A17C: D86C5D80 4A000015
	ds_read_b32 v75, v21 offset:24000                          // 00000000A184: D86C5DC0 4B000015
	ds_read_b32 v76, v21 offset:26112                          // 00000000A18C: D86C6600 4C000015
	ds_read_b32 v77, v21 offset:26176                          // 00000000A194: D86C6640 4D000015
	ds_read_b32 v78, v21 offset:28288                          // 00000000A19C: D86C6E80 4E000015
	ds_read_b32 v79, v21 offset:28352                          // 00000000A1A4: D86C6EC0 4F000015
	ds_read_b32 v80, v21 offset:30464                          // 00000000A1AC: D86C7700 50000015
	ds_read_b32 v81, v21 offset:30528                          // 00000000A1B4: D86C7740 51000015
	ds_read_b32 v82, v21 offset:32640                          // 00000000A1BC: D86C7F80 52000015
	ds_read_b32 v83, v21 offset:32704                          // 00000000A1C4: D86C7FC0 53000015
	s_waitcnt lgkmcnt(0)                                       // 00000000A1CC: BF8CC07F
	s_mov_b32 s36, -1                                          // 00000000A1D0: BEA400C1
	s_mov_b32 s37, -1                                          // 00000000A1D4: BEA500C1
	v_mov_b32_e32 v7, 0                                        // 00000000A1D8: 7E0E0280
	s_or_b32 s9, s9, 0x40000                                   // 00000000A1DC: 8709FF09 00040000
	s_mov_b64 exec, s[36:37]                                   // 00000000A1E4: BEFE0124
	v_mov_b32_e32 v6, v37                                      // 00000000A1E8: 7E0C0325
	s_mov_b64 s[60:61], 0                                      // 00000000A1EC: BEBC0180
	v_readlane_b32 s82, v3, 0                                  // 00000000A1F0: D2890052 00010103
	s_and_b32 s82, s82, 0xffffff                               // 00000000A1F8: 8652FF52 00FFFFFF
	s_cmp_lt_u32 s82, s66                                      // 00000000A200: BF0A4252
	s_cselect_b32 s20, s36, s60                                // 00000000A204: 85143C24
	v_readlane_b32 s82, v3, 1                                  // 00000000A208: D2890052 00010303
	s_and_b32 s82, s82, 0xffffff                               // 00000000A210: 8652FF52 00FFFFFF
	s_cmp_lt_u32 s82, s66                                      // 00000000A218: BF0A4252
	s_cselect_b32 s21, s36, s60                                // 00000000A21C: 85153C24
	s_mov_b64 exec, s[20:21]                                   // 00000000A220: BEFE0114
	buffer_store_dword v52, v6, s[8:11], 0 offen               // 00000000A224: E0701000 80023406
	buffer_store_dword v54, v6, s[8:11], 0 offen offset:128    // 00000000A22C: E0701080 80023606
	buffer_store_dword v56, v6, s[8:11], 0 offen offset:256    // 00000000A234: E0701100 80023806
	buffer_store_dword v58, v6, s[8:11], 0 offen offset:384    // 00000000A23C: E0701180 80023A06
	buffer_store_dword v60, v6, s[8:11], 0 offen offset:512    // 00000000A244: E0701200 80023C06
	buffer_store_dword v62, v6, s[8:11], 0 offen offset:640    // 00000000A24C: E0701280 80023E06
	buffer_store_dword v64, v6, s[8:11], 0 offen offset:768    // 00000000A254: E0701300 80024006
	buffer_store_dword v66, v6, s[8:11], 0 offen offset:896    // 00000000A25C: E0701380 80024206
	s_mov_b64 exec, s[36:37]                                   // 00000000A264: BEFE0124
	v_mov_b32_e32 v6, v38                                      // 00000000A268: 7E0C0326
	s_mov_b64 s[60:61], 0                                      // 00000000A26C: BEBC0180
	v_readlane_b32 s82, v3, 2                                  // 00000000A270: D2890052 00010503
	s_and_b32 s82, s82, 0xffffff                               // 00000000A278: 8652FF52 00FFFFFF
	s_cmp_lt_u32 s82, s66                                      // 00000000A280: BF0A4252
	s_cselect_b32 s20, s36, s60                                // 00000000A284: 85143C24
	v_readlane_b32 s82, v3, 3                                  // 00000000A288: D2890052 00010703
	s_and_b32 s82, s82, 0xffffff                               // 00000000A290: 8652FF52 00FFFFFF
	s_cmp_lt_u32 s82, s66                                      // 00000000A298: BF0A4252
	s_cselect_b32 s21, s36, s60                                // 00000000A29C: 85153C24
	s_mov_b64 exec, s[20:21]                                   // 00000000A2A0: BEFE0114
	buffer_store_dword v53, v6, s[8:11], 0 offen               // 00000000A2A4: E0701000 80023506
	buffer_store_dword v55, v6, s[8:11], 0 offen offset:128    // 00000000A2AC: E0701080 80023706
	buffer_store_dword v57, v6, s[8:11], 0 offen offset:256    // 00000000A2B4: E0701100 80023906
	buffer_store_dword v59, v6, s[8:11], 0 offen offset:384    // 00000000A2BC: E0701180 80023B06
	buffer_store_dword v61, v6, s[8:11], 0 offen offset:512    // 00000000A2C4: E0701200 80023D06
	buffer_store_dword v63, v6, s[8:11], 0 offen offset:640    // 00000000A2CC: E0701280 80023F06
	buffer_store_dword v65, v6, s[8:11], 0 offen offset:768    // 00000000A2D4: E0701300 80024106
	buffer_store_dword v67, v6, s[8:11], 0 offen offset:896    // 00000000A2DC: E0701380 80024306
	s_mov_b64 exec, s[36:37]                                   // 00000000A2E4: BEFE0124
	v_mov_b32_e32 v6, v39                                      // 00000000A2E8: 7E0C0327
	s_mov_b64 s[60:61], 0                                      // 00000000A2EC: BEBC0180
	v_readlane_b32 s82, v3, 4                                  // 00000000A2F0: D2890052 00010903
	s_and_b32 s82, s82, 0xffffff                               // 00000000A2F8: 8652FF52 00FFFFFF
	s_cmp_lt_u32 s82, s66                                      // 00000000A300: BF0A4252
	s_cselect_b32 s20, s36, s60                                // 00000000A304: 85143C24
	v_readlane_b32 s82, v3, 5                                  // 00000000A308: D2890052 00010B03
	s_and_b32 s82, s82, 0xffffff                               // 00000000A310: 8652FF52 00FFFFFF
	s_cmp_lt_u32 s82, s66                                      // 00000000A318: BF0A4252
	s_cselect_b32 s21, s36, s60                                // 00000000A31C: 85153C24
	s_mov_b64 exec, s[20:21]                                   // 00000000A320: BEFE0114
	buffer_store_dword v68, v6, s[8:11], 0 offen               // 00000000A324: E0701000 80024406
	buffer_store_dword v70, v6, s[8:11], 0 offen offset:128    // 00000000A32C: E0701080 80024606
	buffer_store_dword v72, v6, s[8:11], 0 offen offset:256    // 00000000A334: E0701100 80024806
	buffer_store_dword v74, v6, s[8:11], 0 offen offset:384    // 00000000A33C: E0701180 80024A06
	buffer_store_dword v76, v6, s[8:11], 0 offen offset:512    // 00000000A344: E0701200 80024C06
	buffer_store_dword v78, v6, s[8:11], 0 offen offset:640    // 00000000A34C: E0701280 80024E06
	buffer_store_dword v80, v6, s[8:11], 0 offen offset:768    // 00000000A354: E0701300 80025006
	buffer_store_dword v82, v6, s[8:11], 0 offen offset:896    // 00000000A35C: E0701380 80025206
	s_mov_b64 exec, s[36:37]                                   // 00000000A364: BEFE0124
	v_mov_b32_e32 v6, v40                                      // 00000000A368: 7E0C0328
	s_mov_b64 s[60:61], 0                                      // 00000000A36C: BEBC0180
	v_readlane_b32 s82, v3, 6                                  // 00000000A370: D2890052 00010D03
	s_and_b32 s82, s82, 0xffffff                               // 00000000A378: 8652FF52 00FFFFFF
	s_cmp_lt_u32 s82, s66                                      // 00000000A380: BF0A4252
	s_cselect_b32 s20, s36, s60                                // 00000000A384: 85143C24
	v_readlane_b32 s82, v3, 7                                  // 00000000A388: D2890052 00010F03
	s_and_b32 s82, s82, 0xffffff                               // 00000000A390: 8652FF52 00FFFFFF
	s_cmp_lt_u32 s82, s66                                      // 00000000A398: BF0A4252
	s_cselect_b32 s21, s36, s60                                // 00000000A39C: 85153C24
	s_mov_b64 exec, s[20:21]                                   // 00000000A3A0: BEFE0114
	buffer_store_dword v69, v6, s[8:11], 0 offen               // 00000000A3A4: E0701000 80024506
	buffer_store_dword v71, v6, s[8:11], 0 offen offset:128    // 00000000A3AC: E0701080 80024706
	buffer_store_dword v73, v6, s[8:11], 0 offen offset:256    // 00000000A3B4: E0701100 80024906
	buffer_store_dword v75, v6, s[8:11], 0 offen offset:384    // 00000000A3BC: E0701180 80024B06
	buffer_store_dword v77, v6, s[8:11], 0 offen offset:512    // 00000000A3C4: E0701200 80024D06
	buffer_store_dword v79, v6, s[8:11], 0 offen offset:640    // 00000000A3CC: E0701280 80024F06
	buffer_store_dword v81, v6, s[8:11], 0 offen offset:768    // 00000000A3D4: E0701300 80025106
	buffer_store_dword v83, v6, s[8:11], 0 offen offset:896    // 00000000A3DC: E0701380 80025306
	s_mov_b64 exec, s[36:37]                                   // 00000000A3E4: BEFE0124
	s_branch label_2280                                        // 00000000A3E8: BF820402

000000000000a3ec <label_1E7E>:
	ds_write_b64 v20, v[52:53]                                 // 00000000A3EC: D89A0000 00003414
	ds_write_b64 v20, v[56:57] offset:17408                    // 00000000A3F4: D89A4400 00003814
	ds_write_b64 v20, v[60:61] offset:2176                     // 00000000A3FC: D89A0880 00003C14
	ds_write_b64 v20, v[64:65] offset:19584                    // 00000000A404: D89A4C80 00004014
	ds_write_b64 v20, v[68:69] offset:4352                     // 00000000A40C: D89A1100 00004414
	ds_write_b64 v20, v[72:73] offset:21760                    // 00000000A414: D89A5500 00004814
	ds_write_b64 v20, v[76:77] offset:6528                     // 00000000A41C: D89A1980 00004C14
	ds_write_b64 v20, v[80:81] offset:23936                    // 00000000A424: D89A5D80 00005014
	ds_write_b64 v20, v[84:85] offset:8704                     // 00000000A42C: D89A2200 00005414
	ds_write_b64 v20, v[88:89] offset:26112                    // 00000000A434: D89A6600 00005814
	ds_write_b64 v20, v[92:93] offset:10880                    // 00000000A43C: D89A2A80 00005C14
	ds_write_b64 v20, v[96:97] offset:28288                    // 00000000A444: D89A6E80 00006014
	ds_write_b64 v20, v[100:101] offset:13056                  // 00000000A44C: D89A3300 00006414
	ds_write_b64 v20, v[104:105] offset:30464                  // 00000000A454: D89A7700 00006814
	ds_write_b64 v20, v[108:109] offset:15232                  // 00000000A45C: D89A3B80 00006C14
	ds_write_b64 v20, v[112:113] offset:32640                  // 00000000A464: D89A7F80 00007014
	v_lshrrev_b32_e32 v4, 5, v0                                // 00000000A46C: 20080085
	v_xor_b32_e32 v5, 1, v4                                    // 00000000A470: 2A0A0881
	s_mul_i32 s60, s65, 2                                      // 00000000A474: 923C8241
	s_cmp_eq_u32 s88, 0                                        // 00000000A478: BF068058
	s_cselect_b32 s61, 1, 4                                    // 00000000A47C: 853D8481
	s_mul_i32 s60, s61, s60                                    // 00000000A480: 923C3C3D
	v_readlane_b32 s82, v3, 0                                  // 00000000A484: D2890052 00010103
	s_lshr_b32 s61, s82, 24                                    // 00000000A48C: 8F3D9852
	s_and_b32 s82, s82, 0xffffff                               // 00000000A490: 8652FF52 00FFFFFF
	s_mul_i32 s82, s82, s71                                    // 00000000A498: 92524752
	s_mul_i32 s61, s60, s61                                    // 00000000A49C: 923D3D3C
	s_add_u32 s82, s82, s61                                    // 00000000A4A0: 80523D52
	v_mul_lo_u32 v6, v5, s82                                   // 00000000A4A4: D2850006 0000A505
	v_readlane_b32 s82, v3, 1                                  // 00000000A4AC: D2890052 00010303
	s_lshr_b32 s61, s82, 24                                    // 00000000A4B4: 8F3D9852
	s_and_b32 s82, s82, 0xffffff                               // 00000000A4B8: 8652FF52 00FFFFFF
	s_mul_i32 s82, s82, s71                                    // 00000000A4C0: 92524752
	s_mul_i32 s61, s60, s61                                    // 00000000A4C4: 923D3D3C
	s_add_u32 s82, s82, s61                                    // 00000000A4C8: 80523D52
	v_mul_lo_u32 v7, v4, s82                                   // 00000000A4CC: D2850007 0000A504
	v_add_u32_e32 v37, v6, v7                                  // 00000000A4D4: 684A0F06
	v_readlane_b32 s82, v3, 2                                  // 00000000A4D8: D2890052 00010503
	s_lshr_b32 s61, s82, 24                                    // 00000000A4E0: 8F3D9852
	s_and_b32 s82, s82, 0xffffff                               // 00000000A4E4: 8652FF52 00FFFFFF
	s_mul_i32 s82, s82, s71                                    // 00000000A4EC: 92524752
	s_mul_i32 s61, s60, s61                                    // 00000000A4F0: 923D3D3C
	s_add_u32 s82, s82, s61                                    // 00000000A4F4: 80523D52
	v_mul_lo_u32 v6, v5, s82                                   // 00000000A4F8: D2850006 0000A505
	v_readlane_b32 s82, v3, 3                                  // 00000000A500: D2890052 00010703
	s_lshr_b32 s61, s82, 24                                    // 00000000A508: 8F3D9852
	s_and_b32 s82, s82, 0xffffff                               // 00000000A50C: 8652FF52 00FFFFFF
	s_mul_i32 s82, s82, s71                                    // 00000000A514: 92524752
	s_mul_i32 s61, s60, s61                                    // 00000000A518: 923D3D3C
	s_add_u32 s82, s82, s61                                    // 00000000A51C: 80523D52
	v_mul_lo_u32 v7, v4, s82                                   // 00000000A520: D2850007 0000A504
	v_add_u32_e32 v38, v6, v7                                  // 00000000A528: 684C0F06
	v_readlane_b32 s82, v3, 4                                  // 00000000A52C: D2890052 00010903
	s_lshr_b32 s61, s82, 24                                    // 00000000A534: 8F3D9852
	s_and_b32 s82, s82, 0xffffff                               // 00000000A538: 8652FF52 00FFFFFF
	s_mul_i32 s82, s82, s71                                    // 00000000A540: 92524752
	s_mul_i32 s61, s60, s61                                    // 00000000A544: 923D3D3C
	s_add_u32 s82, s82, s61                                    // 00000000A548: 80523D52
	v_mul_lo_u32 v6, v5, s82                                   // 00000000A54C: D2850006 0000A505
	v_readlane_b32 s82, v3, 5                                  // 00000000A554: D2890052 00010B03
	s_lshr_b32 s61, s82, 24                                    // 00000000A55C: 8F3D9852
	s_and_b32 s82, s82, 0xffffff                               // 00000000A560: 8652FF52 00FFFFFF
	s_mul_i32 s82, s82, s71                                    // 00000000A568: 92524752
	s_mul_i32 s61, s60, s61                                    // 00000000A56C: 923D3D3C
	s_add_u32 s82, s82, s61                                    // 00000000A570: 80523D52
	v_mul_lo_u32 v7, v4, s82                                   // 00000000A574: D2850007 0000A504
	v_add_u32_e32 v39, v6, v7                                  // 00000000A57C: 684E0F06
	v_readlane_b32 s82, v3, 6                                  // 00000000A580: D2890052 00010D03
	s_lshr_b32 s61, s82, 24                                    // 00000000A588: 8F3D9852
	s_and_b32 s82, s82, 0xffffff                               // 00000000A58C: 8652FF52 00FFFFFF
	s_mul_i32 s82, s82, s71                                    // 00000000A594: 92524752
	s_mul_i32 s61, s60, s61                                    // 00000000A598: 923D3D3C
	s_add_u32 s82, s82, s61                                    // 00000000A59C: 80523D52
	v_mul_lo_u32 v6, v5, s82                                   // 00000000A5A0: D2850006 0000A505
	v_readlane_b32 s82, v3, 7                                  // 00000000A5A8: D2890052 00010F03
	s_lshr_b32 s61, s82, 24                                    // 00000000A5B0: 8F3D9852
	s_and_b32 s82, s82, 0xffffff                               // 00000000A5B4: 8652FF52 00FFFFFF
	s_mul_i32 s82, s82, s71                                    // 00000000A5BC: 92524752
	s_mul_i32 s61, s60, s61                                    // 00000000A5C0: 923D3D3C
	s_add_u32 s82, s82, s61                                    // 00000000A5C4: 80523D52
	v_mul_lo_u32 v7, v4, s82                                   // 00000000A5C8: D2850007 0000A504
	v_add_u32_e32 v40, v6, v7                                  // 00000000A5D0: 68500F06
	v_and_b32_e32 v4, 31, v0                                   // 00000000A5D4: 2608009F
	v_lshrrev_b32_e32 v4, 1, v4                                // 00000000A5D8: 20080881
	s_cmp_eq_u32 s88, 0                                        // 00000000A5DC: BF068058
	s_cselect_b32 s61, 2, 4                                    // 00000000A5E0: 853D8482
	v_mul_lo_u32 v4, v4, s61                                   // 00000000A5E4: D2850004 00007B04
	v_and_b32_e64 v5, v0, 1                                    // 00000000A5EC: D1130005 00010300
	v_add_u32_e32 v4, v4, v5                                   // 00000000A5F4: 68080B04
	v_lshlrev_b32_e32 v4, 2, v4                                // 00000000A5F8: 24080882
	v_add_u32_e32 v37, v37, v4                                 // 00000000A5FC: 684A0925
	v_add_u32_e32 v38, v38, v4                                 // 00000000A600: 684C0926
	v_add_u32_e32 v39, v39, v4                                 // 00000000A604: 684E0927
	v_add_u32_e32 v40, v40, v4                                 // 00000000A608: 68500928
	s_waitcnt lgkmcnt(0)                                       // 00000000A60C: BF8CC07F
	s_barrier                                                  // 00000000A610: BF8A0000
	ds_read_b32 v52, v21                                       // 00000000A614: D86C0000 34000015
	ds_read_b32 v53, v21 offset:64                             // 00000000A61C: D86C0040 35000015
	ds_read_b32 v56, v21 offset:2176                           // 00000000A624: D86C0880 38000015
	ds_read_b32 v57, v21 offset:2240                           // 00000000A62C: D86C08C0 39000015
	ds_read_b32 v60, v21 offset:4352                           // 00000000A634: D86C1100 3C000015
	ds_read_b32 v61, v21 offset:4416                           // 00000000A63C: D86C1140 3D000015
	ds_read_b32 v64, v21 offset:6528                           // 00000000A644: D86C1980 40000015
	ds_read_b32 v65, v21 offset:6592                           // 00000000A64C: D86C19C0 41000015
	ds_read_b32 v68, v21 offset:8704                           // 00000000A654: D86C2200 44000015
	ds_read_b32 v69, v21 offset:8768                           // 00000000A65C: D86C2240 45000015
	ds_read_b32 v72, v21 offset:10880                          // 00000000A664: D86C2A80 48000015
	ds_read_b32 v73, v21 offset:10944                          // 00000000A66C: D86C2AC0 49000015
	ds_read_b32 v76, v21 offset:13056                          // 00000000A674: D86C3300 4C000015
	ds_read_b32 v77, v21 offset:13120                          // 00000000A67C: D86C3340 4D000015
	ds_read_b32 v80, v21 offset:15232                          // 00000000A684: D86C3B80 50000015
	ds_read_b32 v81, v21 offset:15296                          // 00000000A68C: D86C3BC0 51000015
	ds_read_b32 v84, v21 offset:17408                          // 00000000A694: D86C4400 54000015
	ds_read_b32 v85, v21 offset:17472                          // 00000000A69C: D86C4440 55000015
	ds_read_b32 v88, v21 offset:19584                          // 00000000A6A4: D86C4C80 58000015
	ds_read_b32 v89, v21 offset:19648                          // 00000000A6AC: D86C4CC0 59000015
	ds_read_b32 v92, v21 offset:21760                          // 00000000A6B4: D86C5500 5C000015
	ds_read_b32 v93, v21 offset:21824                          // 00000000A6BC: D86C5540 5D000015
	ds_read_b32 v96, v21 offset:23936                          // 00000000A6C4: D86C5D80 60000015
	ds_read_b32 v97, v21 offset:24000                          // 00000000A6CC: D86C5DC0 61000015
	ds_read_b32 v100, v21 offset:26112                         // 00000000A6D4: D86C6600 64000015
	ds_read_b32 v101, v21 offset:26176                         // 00000000A6DC: D86C6640 65000015
	ds_read_b32 v104, v21 offset:28288                         // 00000000A6E4: D86C6E80 68000015
	ds_read_b32 v105, v21 offset:28352                         // 00000000A6EC: D86C6EC0 69000015
	ds_read_b32 v108, v21 offset:30464                         // 00000000A6F4: D86C7700 6C000015
	ds_read_b32 v109, v21 offset:30528                         // 00000000A6FC: D86C7740 6D000015
	ds_read_b32 v112, v21 offset:32640                         // 00000000A704: D86C7F80 70000015
	ds_read_b32 v113, v21 offset:32704                         // 00000000A70C: D86C7FC0 71000015
	s_waitcnt lgkmcnt(0)                                       // 00000000A714: BF8CC07F
	s_mov_b32 s36, -1                                          // 00000000A718: BEA400C1
	s_mov_b32 s37, -1                                          // 00000000A71C: BEA500C1
	v_mov_b32_e32 v7, 0                                        // 00000000A720: 7E0E0280
	s_mov_b64 exec, s[36:37]                                   // 00000000A724: BEFE0124
	v_mov_b32_e32 v6, v37                                      // 00000000A728: 7E0C0325
	s_mov_b64 s[60:61], 0                                      // 00000000A72C: BEBC0180
	v_readlane_b32 s82, v3, 0                                  // 00000000A730: D2890052 00010103
	s_and_b32 s82, s82, 0xffffff                               // 00000000A738: 8652FF52 00FFFFFF
	s_cmp_lt_u32 s82, s66                                      // 00000000A740: BF0A4252
	s_cselect_b32 s20, s36, s60                                // 00000000A744: 85143C24
	v_readlane_b32 s82, v3, 1                                  // 00000000A748: D2890052 00010303
	s_and_b32 s82, s82, 0xffffff                               // 00000000A750: 8652FF52 00FFFFFF
	s_cmp_lt_u32 s82, s66                                      // 00000000A758: BF0A4252
	s_cselect_b32 s21, s36, s60                                // 00000000A75C: 85153C24
	s_mov_b64 exec, s[20:21]                                   // 00000000A760: BEFE0114
	global_atomic_add_f32 v6, v52, s[8:9]                      // 00000000A764: DD348000 00083406
	global_atomic_add_f32 v6, v56, s[8:9] offset:256           // 00000000A76C: DD348100 00083806
	global_atomic_add_f32 v6, v60, s[8:9] offset:512           // 00000000A774: DD348200 00083C06
	global_atomic_add_f32 v6, v64, s[8:9] offset:768           // 00000000A77C: DD348300 00084006
	global_atomic_add_f32 v6, v68, s[8:9] offset:1024          // 00000000A784: DD348400 00084406
	global_atomic_add_f32 v6, v72, s[8:9] offset:1280          // 00000000A78C: DD348500 00084806
	global_atomic_add_f32 v6, v76, s[8:9] offset:1536          // 00000000A794: DD348600 00084C06
	global_atomic_add_f32 v6, v80, s[8:9] offset:1792          // 00000000A79C: DD348700 00085006
	s_mov_b64 exec, s[36:37]                                   // 00000000A7A4: BEFE0124
	v_mov_b32_e32 v6, v38                                      // 00000000A7A8: 7E0C0326
	s_mov_b64 s[60:61], 0                                      // 00000000A7AC: BEBC0180
	v_readlane_b32 s82, v3, 2                                  // 00000000A7B0: D2890052 00010503
	s_and_b32 s82, s82, 0xffffff                               // 00000000A7B8: 8652FF52 00FFFFFF
	s_cmp_lt_u32 s82, s66                                      // 00000000A7C0: BF0A4252
	s_cselect_b32 s20, s36, s60                                // 00000000A7C4: 85143C24
	v_readlane_b32 s82, v3, 3                                  // 00000000A7C8: D2890052 00010703
	s_and_b32 s82, s82, 0xffffff                               // 00000000A7D0: 8652FF52 00FFFFFF
	s_cmp_lt_u32 s82, s66                                      // 00000000A7D8: BF0A4252
	s_cselect_b32 s21, s36, s60                                // 00000000A7DC: 85153C24
	s_mov_b64 exec, s[20:21]                                   // 00000000A7E0: BEFE0114
	global_atomic_add_f32 v6, v53, s[8:9]                      // 00000000A7E4: DD348000 00083506
	global_atomic_add_f32 v6, v57, s[8:9] offset:256           // 00000000A7EC: DD348100 00083906
	global_atomic_add_f32 v6, v61, s[8:9] offset:512           // 00000000A7F4: DD348200 00083D06
	global_atomic_add_f32 v6, v65, s[8:9] offset:768           // 00000000A7FC: DD348300 00084106
	global_atomic_add_f32 v6, v69, s[8:9] offset:1024          // 00000000A804: DD348400 00084506
	global_atomic_add_f32 v6, v73, s[8:9] offset:1280          // 00000000A80C: DD348500 00084906
	global_atomic_add_f32 v6, v77, s[8:9] offset:1536          // 00000000A814: DD348600 00084D06
	global_atomic_add_f32 v6, v81, s[8:9] offset:1792          // 00000000A81C: DD348700 00085106
	s_mov_b64 exec, s[36:37]                                   // 00000000A824: BEFE0124
	v_mov_b32_e32 v6, v39                                      // 00000000A828: 7E0C0327
	s_mov_b64 s[60:61], 0                                      // 00000000A82C: BEBC0180
	v_readlane_b32 s82, v3, 4                                  // 00000000A830: D2890052 00010903
	s_and_b32 s82, s82, 0xffffff                               // 00000000A838: 8652FF52 00FFFFFF
	s_cmp_lt_u32 s82, s66                                      // 00000000A840: BF0A4252
	s_cselect_b32 s20, s36, s60                                // 00000000A844: 85143C24
	v_readlane_b32 s82, v3, 5                                  // 00000000A848: D2890052 00010B03
	s_and_b32 s82, s82, 0xffffff                               // 00000000A850: 8652FF52 00FFFFFF
	s_cmp_lt_u32 s82, s66                                      // 00000000A858: BF0A4252
	s_cselect_b32 s21, s36, s60                                // 00000000A85C: 85153C24
	s_mov_b64 exec, s[20:21]                                   // 00000000A860: BEFE0114
	global_atomic_add_f32 v6, v84, s[8:9]                      // 00000000A864: DD348000 00085406
	global_atomic_add_f32 v6, v88, s[8:9] offset:256           // 00000000A86C: DD348100 00085806
	global_atomic_add_f32 v6, v92, s[8:9] offset:512           // 00000000A874: DD348200 00085C06
	global_atomic_add_f32 v6, v96, s[8:9] offset:768           // 00000000A87C: DD348300 00086006
	global_atomic_add_f32 v6, v100, s[8:9] offset:1024         // 00000000A884: DD348400 00086406
	global_atomic_add_f32 v6, v104, s[8:9] offset:1280         // 00000000A88C: DD348500 00086806
	global_atomic_add_f32 v6, v108, s[8:9] offset:1536         // 00000000A894: DD348600 00086C06
	global_atomic_add_f32 v6, v112, s[8:9] offset:1792         // 00000000A89C: DD348700 00087006
	s_mov_b64 exec, s[36:37]                                   // 00000000A8A4: BEFE0124
	v_mov_b32_e32 v6, v40                                      // 00000000A8A8: 7E0C0328
	s_mov_b64 s[60:61], 0                                      // 00000000A8AC: BEBC0180
	v_readlane_b32 s82, v3, 6                                  // 00000000A8B0: D2890052 00010D03
	s_and_b32 s82, s82, 0xffffff                               // 00000000A8B8: 8652FF52 00FFFFFF
	s_cmp_lt_u32 s82, s66                                      // 00000000A8C0: BF0A4252
	s_cselect_b32 s20, s36, s60                                // 00000000A8C4: 85143C24
	v_readlane_b32 s82, v3, 7                                  // 00000000A8C8: D2890052 00010F03
	s_and_b32 s82, s82, 0xffffff                               // 00000000A8D0: 8652FF52 00FFFFFF
	s_cmp_lt_u32 s82, s66                                      // 00000000A8D8: BF0A4252
	s_cselect_b32 s21, s36, s60                                // 00000000A8DC: 85153C24
	s_mov_b64 exec, s[20:21]                                   // 00000000A8E0: BEFE0114
	global_atomic_add_f32 v6, v85, s[8:9]                      // 00000000A8E4: DD348000 00085506
	global_atomic_add_f32 v6, v89, s[8:9] offset:256           // 00000000A8EC: DD348100 00085906
	global_atomic_add_f32 v6, v93, s[8:9] offset:512           // 00000000A8F4: DD348200 00085D06
	global_atomic_add_f32 v6, v97, s[8:9] offset:768           // 00000000A8FC: DD348300 00086106
	global_atomic_add_f32 v6, v101, s[8:9] offset:1024         // 00000000A904: DD348400 00086506
	global_atomic_add_f32 v6, v105, s[8:9] offset:1280         // 00000000A90C: DD348500 00086906
	global_atomic_add_f32 v6, v109, s[8:9] offset:1536         // 00000000A914: DD348600 00086D06
	global_atomic_add_f32 v6, v113, s[8:9] offset:1792         // 00000000A91C: DD348700 00087106
	s_mov_b64 exec, s[36:37]                                   // 00000000A924: BEFE0124
	ds_write_b64 v20, v[54:55]                                 // 00000000A928: D89A0000 00003614
	ds_write_b64 v20, v[58:59] offset:17408                    // 00000000A930: D89A4400 00003A14
	ds_write_b64 v20, v[62:63] offset:2176                     // 00000000A938: D89A0880 00003E14
	ds_write_b64 v20, v[66:67] offset:19584                    // 00000000A940: D89A4C80 00004214
	ds_write_b64 v20, v[70:71] offset:4352                     // 00000000A948: D89A1100 00004614
	ds_write_b64 v20, v[74:75] offset:21760                    // 00000000A950: D89A5500 00004A14
	ds_write_b64 v20, v[78:79] offset:6528                     // 00000000A958: D89A1980 00004E14
	ds_write_b64 v20, v[82:83] offset:23936                    // 00000000A960: D89A5D80 00005214
	ds_write_b64 v20, v[86:87] offset:8704                     // 00000000A968: D89A2200 00005614
	ds_write_b64 v20, v[90:91] offset:26112                    // 00000000A970: D89A6600 00005A14
	ds_write_b64 v20, v[94:95] offset:10880                    // 00000000A978: D89A2A80 00005E14
	ds_write_b64 v20, v[98:99] offset:28288                    // 00000000A980: D89A6E80 00006214
	ds_write_b64 v20, v[102:103] offset:13056                  // 00000000A988: D89A3300 00006614
	ds_write_b64 v20, v[106:107] offset:30464                  // 00000000A990: D89A7700 00006A14
	ds_write_b64 v20, v[110:111] offset:15232                  // 00000000A998: D89A3B80 00006E14
	ds_write_b64 v20, v[114:115] offset:32640                  // 00000000A9A0: D89A7F80 00007214
	s_waitcnt lgkmcnt(0)                                       // 00000000A9A8: BF8CC07F
	s_barrier                                                  // 00000000A9AC: BF8A0000
	ds_read_b32 v54, v21                                       // 00000000A9B0: D86C0000 36000015
	ds_read_b32 v55, v21 offset:64                             // 00000000A9B8: D86C0040 37000015
	ds_read_b32 v58, v21 offset:2176                           // 00000000A9C0: D86C0880 3A000015
	ds_read_b32 v59, v21 offset:2240                           // 00000000A9C8: D86C08C0 3B000015
	ds_read_b32 v62, v21 offset:4352                           // 00000000A9D0: D86C1100 3E000015
	ds_read_b32 v63, v21 offset:4416                           // 00000000A9D8: D86C1140 3F000015
	ds_read_b32 v66, v21 offset:6528                           // 00000000A9E0: D86C1980 42000015
	ds_read_b32 v67, v21 offset:6592                           // 00000000A9E8: D86C19C0 43000015
	ds_read_b32 v70, v21 offset:8704                           // 00000000A9F0: D86C2200 46000015
	ds_read_b32 v71, v21 offset:8768                           // 00000000A9F8: D86C2240 47000015
	ds_read_b32 v74, v21 offset:10880                          // 00000000AA00: D86C2A80 4A000015
	ds_read_b32 v75, v21 offset:10944                          // 00000000AA08: D86C2AC0 4B000015
	ds_read_b32 v78, v21 offset:13056                          // 00000000AA10: D86C3300 4E000015
	ds_read_b32 v79, v21 offset:13120                          // 00000000AA18: D86C3340 4F000015
	ds_read_b32 v82, v21 offset:15232                          // 00000000AA20: D86C3B80 52000015
	ds_read_b32 v83, v21 offset:15296                          // 00000000AA28: D86C3BC0 53000015
	ds_read_b32 v86, v21 offset:17408                          // 00000000AA30: D86C4400 56000015
	ds_read_b32 v87, v21 offset:17472                          // 00000000AA38: D86C4440 57000015
	ds_read_b32 v90, v21 offset:19584                          // 00000000AA40: D86C4C80 5A000015
	ds_read_b32 v91, v21 offset:19648                          // 00000000AA48: D86C4CC0 5B000015
	ds_read_b32 v94, v21 offset:21760                          // 00000000AA50: D86C5500 5E000015
	ds_read_b32 v95, v21 offset:21824                          // 00000000AA58: D86C5540 5F000015
	ds_read_b32 v98, v21 offset:23936                          // 00000000AA60: D86C5D80 62000015
	ds_read_b32 v99, v21 offset:24000                          // 00000000AA68: D86C5DC0 63000015
	ds_read_b32 v102, v21 offset:26112                         // 00000000AA70: D86C6600 66000015
	ds_read_b32 v103, v21 offset:26176                         // 00000000AA78: D86C6640 67000015
	ds_read_b32 v106, v21 offset:28288                         // 00000000AA80: D86C6E80 6A000015
	ds_read_b32 v107, v21 offset:28352                         // 00000000AA88: D86C6EC0 6B000015
	ds_read_b32 v110, v21 offset:30464                         // 00000000AA90: D86C7700 6E000015
	ds_read_b32 v111, v21 offset:30528                         // 00000000AA98: D86C7740 6F000015
	ds_read_b32 v114, v21 offset:32640                         // 00000000AAA0: D86C7F80 72000015
	ds_read_b32 v115, v21 offset:32704                         // 00000000AAA8: D86C7FC0 73000015
	s_waitcnt lgkmcnt(0)                                       // 00000000AAB0: BF8CC07F
	v_mov_b32_e32 v7, 0                                        // 00000000AAB4: 7E0E0280
	s_mov_b64 exec, s[36:37]                                   // 00000000AAB8: BEFE0124
	v_mov_b32_e32 v6, v37                                      // 00000000AABC: 7E0C0325
	s_mov_b64 s[60:61], 0                                      // 00000000AAC0: BEBC0180
	v_readlane_b32 s82, v3, 0                                  // 00000000AAC4: D2890052 00010103
	s_and_b32 s82, s82, 0xffffff                               // 00000000AACC: 8652FF52 00FFFFFF
	s_cmp_lt_u32 s82, s66                                      // 00000000AAD4: BF0A4252
	s_cselect_b32 s20, s36, s60                                // 00000000AAD8: 85143C24
	v_readlane_b32 s82, v3, 1                                  // 00000000AADC: D2890052 00010303
	s_and_b32 s82, s82, 0xffffff                               // 00000000AAE4: 8652FF52 00FFFFFF
	s_cmp_lt_u32 s82, s66                                      // 00000000AAEC: BF0A4252
	s_cselect_b32 s21, s36, s60                                // 00000000AAF0: 85153C24
	s_mov_b64 exec, s[20:21]                                   // 00000000AAF4: BEFE0114
	global_atomic_add_f32 v6, v54, s[8:9] offset:8             // 00000000AAF8: DD348008 00083606
	global_atomic_add_f32 v6, v58, s[8:9] offset:264           // 00000000AB00: DD348108 00083A06
	global_atomic_add_f32 v6, v62, s[8:9] offset:520           // 00000000AB08: DD348208 00083E06
	global_atomic_add_f32 v6, v66, s[8:9] offset:776           // 00000000AB10: DD348308 00084206
	global_atomic_add_f32 v6, v70, s[8:9] offset:1032          // 00000000AB18: DD348408 00084606
	global_atomic_add_f32 v6, v74, s[8:9] offset:1288          // 00000000AB20: DD348508 00084A06
	global_atomic_add_f32 v6, v78, s[8:9] offset:1544          // 00000000AB28: DD348608 00084E06
	global_atomic_add_f32 v6, v82, s[8:9] offset:1800          // 00000000AB30: DD348708 00085206
	s_mov_b64 exec, s[36:37]                                   // 00000000AB38: BEFE0124
	v_mov_b32_e32 v6, v38                                      // 00000000AB3C: 7E0C0326
	s_mov_b64 s[60:61], 0                                      // 00000000AB40: BEBC0180
	v_readlane_b32 s82, v3, 2                                  // 00000000AB44: D2890052 00010503
	s_and_b32 s82, s82, 0xffffff                               // 00000000AB4C: 8652FF52 00FFFFFF
	s_cmp_lt_u32 s82, s66                                      // 00000000AB54: BF0A4252
	s_cselect_b32 s20, s36, s60                                // 00000000AB58: 85143C24
	v_readlane_b32 s82, v3, 3                                  // 00000000AB5C: D2890052 00010703
	s_and_b32 s82, s82, 0xffffff                               // 00000000AB64: 8652FF52 00FFFFFF
	s_cmp_lt_u32 s82, s66                                      // 00000000AB6C: BF0A4252
	s_cselect_b32 s21, s36, s60                                // 00000000AB70: 85153C24
	s_mov_b64 exec, s[20:21]                                   // 00000000AB74: BEFE0114
	global_atomic_add_f32 v6, v55, s[8:9] offset:8             // 00000000AB78: DD348008 00083706
	global_atomic_add_f32 v6, v59, s[8:9] offset:264           // 00000000AB80: DD348108 00083B06
	global_atomic_add_f32 v6, v63, s[8:9] offset:520           // 00000000AB88: DD348208 00083F06
	global_atomic_add_f32 v6, v67, s[8:9] offset:776           // 00000000AB90: DD348308 00084306
	global_atomic_add_f32 v6, v71, s[8:9] offset:1032          // 00000000AB98: DD348408 00084706
	global_atomic_add_f32 v6, v75, s[8:9] offset:1288          // 00000000ABA0: DD348508 00084B06
	global_atomic_add_f32 v6, v79, s[8:9] offset:1544          // 00000000ABA8: DD348608 00084F06
	global_atomic_add_f32 v6, v83, s[8:9] offset:1800          // 00000000ABB0: DD348708 00085306
	s_mov_b64 exec, s[36:37]                                   // 00000000ABB8: BEFE0124
	v_mov_b32_e32 v6, v39                                      // 00000000ABBC: 7E0C0327
	s_mov_b64 s[60:61], 0                                      // 00000000ABC0: BEBC0180
	v_readlane_b32 s82, v3, 4                                  // 00000000ABC4: D2890052 00010903
	s_and_b32 s82, s82, 0xffffff                               // 00000000ABCC: 8652FF52 00FFFFFF
	s_cmp_lt_u32 s82, s66                                      // 00000000ABD4: BF0A4252
	s_cselect_b32 s20, s36, s60                                // 00000000ABD8: 85143C24
	v_readlane_b32 s82, v3, 5                                  // 00000000ABDC: D2890052 00010B03
	s_and_b32 s82, s82, 0xffffff                               // 00000000ABE4: 8652FF52 00FFFFFF
	s_cmp_lt_u32 s82, s66                                      // 00000000ABEC: BF0A4252
	s_cselect_b32 s21, s36, s60                                // 00000000ABF0: 85153C24
	s_mov_b64 exec, s[20:21]                                   // 00000000ABF4: BEFE0114
	global_atomic_add_f32 v6, v86, s[8:9] offset:8             // 00000000ABF8: DD348008 00085606
	global_atomic_add_f32 v6, v90, s[8:9] offset:264           // 00000000AC00: DD348108 00085A06
	global_atomic_add_f32 v6, v94, s[8:9] offset:520           // 00000000AC08: DD348208 00085E06
	global_atomic_add_f32 v6, v98, s[8:9] offset:776           // 00000000AC10: DD348308 00086206
	global_atomic_add_f32 v6, v102, s[8:9] offset:1032         // 00000000AC18: DD348408 00086606
	global_atomic_add_f32 v6, v106, s[8:9] offset:1288         // 00000000AC20: DD348508 00086A06
	global_atomic_add_f32 v6, v110, s[8:9] offset:1544         // 00000000AC28: DD348608 00086E06
	global_atomic_add_f32 v6, v114, s[8:9] offset:1800         // 00000000AC30: DD348708 00087206
	s_mov_b64 exec, s[36:37]                                   // 00000000AC38: BEFE0124
	v_mov_b32_e32 v6, v40                                      // 00000000AC3C: 7E0C0328
	s_mov_b64 s[60:61], 0                                      // 00000000AC40: BEBC0180
	v_readlane_b32 s82, v3, 6                                  // 00000000AC44: D2890052 00010D03
	s_and_b32 s82, s82, 0xffffff                               // 00000000AC4C: 8652FF52 00FFFFFF
	s_cmp_lt_u32 s82, s66                                      // 00000000AC54: BF0A4252
	s_cselect_b32 s20, s36, s60                                // 00000000AC58: 85143C24
	v_readlane_b32 s82, v3, 7                                  // 00000000AC5C: D2890052 00010F03
	s_and_b32 s82, s82, 0xffffff                               // 00000000AC64: 8652FF52 00FFFFFF
	s_cmp_lt_u32 s82, s66                                      // 00000000AC6C: BF0A4252
	s_cselect_b32 s21, s36, s60                                // 00000000AC70: 85153C24
	s_mov_b64 exec, s[20:21]                                   // 00000000AC74: BEFE0114
	global_atomic_add_f32 v6, v87, s[8:9] offset:8             // 00000000AC78: DD348008 00085706
	global_atomic_add_f32 v6, v91, s[8:9] offset:264           // 00000000AC80: DD348108 00085B06
	global_atomic_add_f32 v6, v95, s[8:9] offset:520           // 00000000AC88: DD348208 00085F06
	global_atomic_add_f32 v6, v99, s[8:9] offset:776           // 00000000AC90: DD348308 00086306
	global_atomic_add_f32 v6, v103, s[8:9] offset:1032         // 00000000AC98: DD348408 00086706
	global_atomic_add_f32 v6, v107, s[8:9] offset:1288         // 00000000ACA0: DD348508 00086B06
	global_atomic_add_f32 v6, v111, s[8:9] offset:1544         // 00000000ACA8: DD348608 00086F06
	global_atomic_add_f32 v6, v115, s[8:9] offset:1800         // 00000000ACB0: DD348708 00087306
	s_mov_b64 exec, s[36:37]                                   // 00000000ACB8: BEFE0124
	ds_write_b64 v20, v[116:117]                               // 00000000ACBC: D89A0000 00007414
	ds_write_b64 v20, v[120:121] offset:17408                  // 00000000ACC4: D89A4400 00007814
	ds_write_b64 v20, v[124:125] offset:2176                   // 00000000ACCC: D89A0880 00007C14
	ds_write_b64 v20, v[128:129] offset:19584                  // 00000000ACD4: D89A4C80 00008014
	ds_write_b64 v20, v[132:133] offset:4352                   // 00000000ACDC: D89A1100 00008414
	ds_write_b64 v20, v[136:137] offset:21760                  // 00000000ACE4: D89A5500 00008814
	ds_write_b64 v20, v[140:141] offset:6528                   // 00000000ACEC: D89A1980 00008C14
	ds_write_b64 v20, v[144:145] offset:23936                  // 00000000ACF4: D89A5D80 00009014
	ds_write_b64 v20, v[148:149] offset:8704                   // 00000000ACFC: D89A2200 00009414
	ds_write_b64 v20, v[152:153] offset:26112                  // 00000000AD04: D89A6600 00009814
	ds_write_b64 v20, v[156:157] offset:10880                  // 00000000AD0C: D89A2A80 00009C14
	ds_write_b64 v20, v[160:161] offset:28288                  // 00000000AD14: D89A6E80 0000A014
	ds_write_b64 v20, v[164:165] offset:13056                  // 00000000AD1C: D89A3300 0000A414
	ds_write_b64 v20, v[168:169] offset:30464                  // 00000000AD24: D89A7700 0000A814
	ds_write_b64 v20, v[172:173] offset:15232                  // 00000000AD2C: D89A3B80 0000AC14
	ds_write_b64 v20, v[176:177] offset:32640                  // 00000000AD34: D89A7F80 0000B014
	s_waitcnt lgkmcnt(0)                                       // 00000000AD3C: BF8CC07F
	s_barrier                                                  // 00000000AD40: BF8A0000
	ds_read_b32 v116, v21                                      // 00000000AD44: D86C0000 74000015
	ds_read_b32 v117, v21 offset:64                            // 00000000AD4C: D86C0040 75000015
	ds_read_b32 v120, v21 offset:2176                          // 00000000AD54: D86C0880 78000015
	ds_read_b32 v121, v21 offset:2240                          // 00000000AD5C: D86C08C0 79000015
	ds_read_b32 v124, v21 offset:4352                          // 00000000AD64: D86C1100 7C000015
	ds_read_b32 v125, v21 offset:4416                          // 00000000AD6C: D86C1140 7D000015
	ds_read_b32 v128, v21 offset:6528                          // 00000000AD74: D86C1980 80000015
	ds_read_b32 v129, v21 offset:6592                          // 00000000AD7C: D86C19C0 81000015
	ds_read_b32 v132, v21 offset:8704                          // 00000000AD84: D86C2200 84000015
	ds_read_b32 v133, v21 offset:8768                          // 00000000AD8C: D86C2240 85000015
	ds_read_b32 v136, v21 offset:10880                         // 00000000AD94: D86C2A80 88000015
	ds_read_b32 v137, v21 offset:10944                         // 00000000AD9C: D86C2AC0 89000015
	ds_read_b32 v140, v21 offset:13056                         // 00000000ADA4: D86C3300 8C000015
	ds_read_b32 v141, v21 offset:13120                         // 00000000ADAC: D86C3340 8D000015
	ds_read_b32 v144, v21 offset:15232                         // 00000000ADB4: D86C3B80 90000015
	ds_read_b32 v145, v21 offset:15296                         // 00000000ADBC: D86C3BC0 91000015
	ds_read_b32 v148, v21 offset:17408                         // 00000000ADC4: D86C4400 94000015
	ds_read_b32 v149, v21 offset:17472                         // 00000000ADCC: D86C4440 95000015
	ds_read_b32 v152, v21 offset:19584                         // 00000000ADD4: D86C4C80 98000015
	ds_read_b32 v153, v21 offset:19648                         // 00000000ADDC: D86C4CC0 99000015
	ds_read_b32 v156, v21 offset:21760                         // 00000000ADE4: D86C5500 9C000015
	ds_read_b32 v157, v21 offset:21824                         // 00000000ADEC: D86C5540 9D000015
	ds_read_b32 v160, v21 offset:23936                         // 00000000ADF4: D86C5D80 A0000015
	ds_read_b32 v161, v21 offset:24000                         // 00000000ADFC: D86C5DC0 A1000015
	ds_read_b32 v164, v21 offset:26112                         // 00000000AE04: D86C6600 A4000015
	ds_read_b32 v165, v21 offset:26176                         // 00000000AE0C: D86C6640 A5000015
	ds_read_b32 v168, v21 offset:28288                         // 00000000AE14: D86C6E80 A8000015
	ds_read_b32 v169, v21 offset:28352                         // 00000000AE1C: D86C6EC0 A9000015
	ds_read_b32 v172, v21 offset:30464                         // 00000000AE24: D86C7700 AC000015
	ds_read_b32 v173, v21 offset:30528                         // 00000000AE2C: D86C7740 AD000015
	ds_read_b32 v176, v21 offset:32640                         // 00000000AE34: D86C7F80 B0000015
	ds_read_b32 v177, v21 offset:32704                         // 00000000AE3C: D86C7FC0 B1000015
	s_mul_i32 s60, s65, 4                                      // 00000000AE44: 923C8441
	s_add_u32 s8, s60, s8                                      // 00000000AE48: 8008083C
	s_addc_u32 s9, 0, s9                                       // 00000000AE4C: 82090980
	s_waitcnt lgkmcnt(0)                                       // 00000000AE50: BF8CC07F
	v_mov_b32_e32 v7, 0                                        // 00000000AE54: 7E0E0280
	s_mov_b64 exec, s[36:37]                                   // 00000000AE58: BEFE0124
	v_mov_b32_e32 v6, v37                                      // 00000000AE5C: 7E0C0325
	s_mov_b64 s[60:61], 0                                      // 00000000AE60: BEBC0180
	v_readlane_b32 s82, v3, 0                                  // 00000000AE64: D2890052 00010103
	s_and_b32 s82, s82, 0xffffff                               // 00000000AE6C: 8652FF52 00FFFFFF
	s_cmp_lt_u32 s82, s66                                      // 00000000AE74: BF0A4252
	s_cselect_b32 s20, s36, s60                                // 00000000AE78: 85143C24
	v_readlane_b32 s82, v3, 1                                  // 00000000AE7C: D2890052 00010303
	s_and_b32 s82, s82, 0xffffff                               // 00000000AE84: 8652FF52 00FFFFFF
	s_cmp_lt_u32 s82, s66                                      // 00000000AE8C: BF0A4252
	s_cselect_b32 s21, s36, s60                                // 00000000AE90: 85153C24
	s_mov_b64 exec, s[20:21]                                   // 00000000AE94: BEFE0114
	global_atomic_add_f32 v6, v116, s[8:9]                     // 00000000AE98: DD348000 00087406
	global_atomic_add_f32 v6, v120, s[8:9] offset:256          // 00000000AEA0: DD348100 00087806
	global_atomic_add_f32 v6, v124, s[8:9] offset:512          // 00000000AEA8: DD348200 00087C06
	global_atomic_add_f32 v6, v128, s[8:9] offset:768          // 00000000AEB0: DD348300 00088006
	global_atomic_add_f32 v6, v132, s[8:9] offset:1024         // 00000000AEB8: DD348400 00088406
	global_atomic_add_f32 v6, v136, s[8:9] offset:1280         // 00000000AEC0: DD348500 00088806
	global_atomic_add_f32 v6, v140, s[8:9] offset:1536         // 00000000AEC8: DD348600 00088C06
	global_atomic_add_f32 v6, v144, s[8:9] offset:1792         // 00000000AED0: DD348700 00089006
	s_mov_b64 exec, s[36:37]                                   // 00000000AED8: BEFE0124
	v_mov_b32_e32 v6, v38                                      // 00000000AEDC: 7E0C0326
	s_mov_b64 s[60:61], 0                                      // 00000000AEE0: BEBC0180
	v_readlane_b32 s82, v3, 2                                  // 00000000AEE4: D2890052 00010503
	s_and_b32 s82, s82, 0xffffff                               // 00000000AEEC: 8652FF52 00FFFFFF
	s_cmp_lt_u32 s82, s66                                      // 00000000AEF4: BF0A4252
	s_cselect_b32 s20, s36, s60                                // 00000000AEF8: 85143C24
	v_readlane_b32 s82, v3, 3                                  // 00000000AEFC: D2890052 00010703
	s_and_b32 s82, s82, 0xffffff                               // 00000000AF04: 8652FF52 00FFFFFF
	s_cmp_lt_u32 s82, s66                                      // 00000000AF0C: BF0A4252
	s_cselect_b32 s21, s36, s60                                // 00000000AF10: 85153C24
	s_mov_b64 exec, s[20:21]                                   // 00000000AF14: BEFE0114
	global_atomic_add_f32 v6, v117, s[8:9]                     // 00000000AF18: DD348000 00087506
	global_atomic_add_f32 v6, v121, s[8:9] offset:256          // 00000000AF20: DD348100 00087906
	global_atomic_add_f32 v6, v125, s[8:9] offset:512          // 00000000AF28: DD348200 00087D06
	global_atomic_add_f32 v6, v129, s[8:9] offset:768          // 00000000AF30: DD348300 00088106
	global_atomic_add_f32 v6, v133, s[8:9] offset:1024         // 00000000AF38: DD348400 00088506
	global_atomic_add_f32 v6, v137, s[8:9] offset:1280         // 00000000AF40: DD348500 00088906
	global_atomic_add_f32 v6, v141, s[8:9] offset:1536         // 00000000AF48: DD348600 00088D06
	global_atomic_add_f32 v6, v145, s[8:9] offset:1792         // 00000000AF50: DD348700 00089106
	s_mov_b64 exec, s[36:37]                                   // 00000000AF58: BEFE0124
	v_mov_b32_e32 v6, v39                                      // 00000000AF5C: 7E0C0327
	s_mov_b64 s[60:61], 0                                      // 00000000AF60: BEBC0180
	v_readlane_b32 s82, v3, 4                                  // 00000000AF64: D2890052 00010903
	s_and_b32 s82, s82, 0xffffff                               // 00000000AF6C: 8652FF52 00FFFFFF
	s_cmp_lt_u32 s82, s66                                      // 00000000AF74: BF0A4252
	s_cselect_b32 s20, s36, s60                                // 00000000AF78: 85143C24
	v_readlane_b32 s82, v3, 5                                  // 00000000AF7C: D2890052 00010B03
	s_and_b32 s82, s82, 0xffffff                               // 00000000AF84: 8652FF52 00FFFFFF
	s_cmp_lt_u32 s82, s66                                      // 00000000AF8C: BF0A4252
	s_cselect_b32 s21, s36, s60                                // 00000000AF90: 85153C24
	s_mov_b64 exec, s[20:21]                                   // 00000000AF94: BEFE0114
	global_atomic_add_f32 v6, v148, s[8:9]                     // 00000000AF98: DD348000 00089406
	global_atomic_add_f32 v6, v152, s[8:9] offset:256          // 00000000AFA0: DD348100 00089806
	global_atomic_add_f32 v6, v156, s[8:9] offset:512          // 00000000AFA8: DD348200 00089C06
	global_atomic_add_f32 v6, v160, s[8:9] offset:768          // 00000000AFB0: DD348300 0008A006
	global_atomic_add_f32 v6, v164, s[8:9] offset:1024         // 00000000AFB8: DD348400 0008A406
	global_atomic_add_f32 v6, v168, s[8:9] offset:1280         // 00000000AFC0: DD348500 0008A806
	global_atomic_add_f32 v6, v172, s[8:9] offset:1536         // 00000000AFC8: DD348600 0008AC06
	global_atomic_add_f32 v6, v176, s[8:9] offset:1792         // 00000000AFD0: DD348700 0008B006
	s_mov_b64 exec, s[36:37]                                   // 00000000AFD8: BEFE0124
	v_mov_b32_e32 v6, v40                                      // 00000000AFDC: 7E0C0328
	s_mov_b64 s[60:61], 0                                      // 00000000AFE0: BEBC0180
	v_readlane_b32 s82, v3, 6                                  // 00000000AFE4: D2890052 00010D03
	s_and_b32 s82, s82, 0xffffff                               // 00000000AFEC: 8652FF52 00FFFFFF
	s_cmp_lt_u32 s82, s66                                      // 00000000AFF4: BF0A4252
	s_cselect_b32 s20, s36, s60                                // 00000000AFF8: 85143C24
	v_readlane_b32 s82, v3, 7                                  // 00000000AFFC: D2890052 00010F03
	s_and_b32 s82, s82, 0xffffff                               // 00000000B004: 8652FF52 00FFFFFF
	s_cmp_lt_u32 s82, s66                                      // 00000000B00C: BF0A4252
	s_cselect_b32 s21, s36, s60                                // 00000000B010: 85153C24
	s_mov_b64 exec, s[20:21]                                   // 00000000B014: BEFE0114
	global_atomic_add_f32 v6, v149, s[8:9]                     // 00000000B018: DD348000 00089506
	global_atomic_add_f32 v6, v153, s[8:9] offset:256          // 00000000B020: DD348100 00089906
	global_atomic_add_f32 v6, v157, s[8:9] offset:512          // 00000000B028: DD348200 00089D06
	global_atomic_add_f32 v6, v161, s[8:9] offset:768          // 00000000B030: DD348300 0008A106
	global_atomic_add_f32 v6, v165, s[8:9] offset:1024         // 00000000B038: DD348400 0008A506
	global_atomic_add_f32 v6, v169, s[8:9] offset:1280         // 00000000B040: DD348500 0008A906
	global_atomic_add_f32 v6, v173, s[8:9] offset:1536         // 00000000B048: DD348600 0008AD06
	global_atomic_add_f32 v6, v177, s[8:9] offset:1792         // 00000000B050: DD348700 0008B106
	s_mov_b64 exec, s[36:37]                                   // 00000000B058: BEFE0124
	ds_write_b64 v20, v[118:119]                               // 00000000B05C: D89A0000 00007614
	ds_write_b64 v20, v[122:123] offset:17408                  // 00000000B064: D89A4400 00007A14
	ds_write_b64 v20, v[126:127] offset:2176                   // 00000000B06C: D89A0880 00007E14
	ds_write_b64 v20, v[130:131] offset:19584                  // 00000000B074: D89A4C80 00008214
	ds_write_b64 v20, v[134:135] offset:4352                   // 00000000B07C: D89A1100 00008614
	ds_write_b64 v20, v[138:139] offset:21760                  // 00000000B084: D89A5500 00008A14
	ds_write_b64 v20, v[142:143] offset:6528                   // 00000000B08C: D89A1980 00008E14
	ds_write_b64 v20, v[146:147] offset:23936                  // 00000000B094: D89A5D80 00009214
	ds_write_b64 v20, v[150:151] offset:8704                   // 00000000B09C: D89A2200 00009614
	ds_write_b64 v20, v[154:155] offset:26112                  // 00000000B0A4: D89A6600 00009A14
	ds_write_b64 v20, v[158:159] offset:10880                  // 00000000B0AC: D89A2A80 00009E14
	ds_write_b64 v20, v[162:163] offset:28288                  // 00000000B0B4: D89A6E80 0000A214
	ds_write_b64 v20, v[166:167] offset:13056                  // 00000000B0BC: D89A3300 0000A614
	ds_write_b64 v20, v[170:171] offset:30464                  // 00000000B0C4: D89A7700 0000AA14
	ds_write_b64 v20, v[174:175] offset:15232                  // 00000000B0CC: D89A3B80 0000AE14
	ds_write_b64 v20, v[178:179] offset:32640                  // 00000000B0D4: D89A7F80 0000B214
	s_waitcnt lgkmcnt(0)                                       // 00000000B0DC: BF8CC07F
	s_barrier                                                  // 00000000B0E0: BF8A0000
	ds_read_b32 v118, v21                                      // 00000000B0E4: D86C0000 76000015
	ds_read_b32 v119, v21 offset:64                            // 00000000B0EC: D86C0040 77000015
	ds_read_b32 v122, v21 offset:2176                          // 00000000B0F4: D86C0880 7A000015
	ds_read_b32 v123, v21 offset:2240                          // 00000000B0FC: D86C08C0 7B000015
	ds_read_b32 v126, v21 offset:4352                          // 00000000B104: D86C1100 7E000015
	ds_read_b32 v127, v21 offset:4416                          // 00000000B10C: D86C1140 7F000015
	ds_read_b32 v130, v21 offset:6528                          // 00000000B114: D86C1980 82000015
	ds_read_b32 v131, v21 offset:6592                          // 00000000B11C: D86C19C0 83000015
	ds_read_b32 v134, v21 offset:8704                          // 00000000B124: D86C2200 86000015
	ds_read_b32 v135, v21 offset:8768                          // 00000000B12C: D86C2240 87000015
	ds_read_b32 v138, v21 offset:10880                         // 00000000B134: D86C2A80 8A000015
	ds_read_b32 v139, v21 offset:10944                         // 00000000B13C: D86C2AC0 8B000015
	ds_read_b32 v142, v21 offset:13056                         // 00000000B144: D86C3300 8E000015
	ds_read_b32 v143, v21 offset:13120                         // 00000000B14C: D86C3340 8F000015
	ds_read_b32 v146, v21 offset:15232                         // 00000000B154: D86C3B80 92000015
	ds_read_b32 v147, v21 offset:15296                         // 00000000B15C: D86C3BC0 93000015
	ds_read_b32 v150, v21 offset:17408                         // 00000000B164: D86C4400 96000015
	ds_read_b32 v151, v21 offset:17472                         // 00000000B16C: D86C4440 97000015
	ds_read_b32 v154, v21 offset:19584                         // 00000000B174: D86C4C80 9A000015
	ds_read_b32 v155, v21 offset:19648                         // 00000000B17C: D86C4CC0 9B000015
	ds_read_b32 v158, v21 offset:21760                         // 00000000B184: D86C5500 9E000015
	ds_read_b32 v159, v21 offset:21824                         // 00000000B18C: D86C5540 9F000015
	ds_read_b32 v162, v21 offset:23936                         // 00000000B194: D86C5D80 A2000015
	ds_read_b32 v163, v21 offset:24000                         // 00000000B19C: D86C5DC0 A3000015
	ds_read_b32 v166, v21 offset:26112                         // 00000000B1A4: D86C6600 A6000015
	ds_read_b32 v167, v21 offset:26176                         // 00000000B1AC: D86C6640 A7000015
	ds_read_b32 v170, v21 offset:28288                         // 00000000B1B4: D86C6E80 AA000015
	ds_read_b32 v171, v21 offset:28352                         // 00000000B1BC: D86C6EC0 AB000015
	ds_read_b32 v174, v21 offset:30464                         // 00000000B1C4: D86C7700 AE000015
	ds_read_b32 v175, v21 offset:30528                         // 00000000B1CC: D86C7740 AF000015
	ds_read_b32 v178, v21 offset:32640                         // 00000000B1D4: D86C7F80 B2000015
	ds_read_b32 v179, v21 offset:32704                         // 00000000B1DC: D86C7FC0 B3000015
	s_waitcnt lgkmcnt(0)                                       // 00000000B1E4: BF8CC07F
	v_mov_b32_e32 v7, 0                                        // 00000000B1E8: 7E0E0280
	s_mov_b64 exec, s[36:37]                                   // 00000000B1EC: BEFE0124
	v_mov_b32_e32 v6, v37                                      // 00000000B1F0: 7E0C0325
	s_mov_b64 s[60:61], 0                                      // 00000000B1F4: BEBC0180
	v_readlane_b32 s82, v3, 0                                  // 00000000B1F8: D2890052 00010103
	s_and_b32 s82, s82, 0xffffff                               // 00000000B200: 8652FF52 00FFFFFF
	s_cmp_lt_u32 s82, s66                                      // 00000000B208: BF0A4252
	s_cselect_b32 s20, s36, s60                                // 00000000B20C: 85143C24
	v_readlane_b32 s82, v3, 1                                  // 00000000B210: D2890052 00010303
	s_and_b32 s82, s82, 0xffffff                               // 00000000B218: 8652FF52 00FFFFFF
	s_cmp_lt_u32 s82, s66                                      // 00000000B220: BF0A4252
	s_cselect_b32 s21, s36, s60                                // 00000000B224: 85153C24
	s_mov_b64 exec, s[20:21]                                   // 00000000B228: BEFE0114
	global_atomic_add_f32 v6, v118, s[8:9] offset:8            // 00000000B22C: DD348008 00087606
	global_atomic_add_f32 v6, v122, s[8:9] offset:264          // 00000000B234: DD348108 00087A06
	global_atomic_add_f32 v6, v126, s[8:9] offset:520          // 00000000B23C: DD348208 00087E06
	global_atomic_add_f32 v6, v130, s[8:9] offset:776          // 00000000B244: DD348308 00088206
	global_atomic_add_f32 v6, v134, s[8:9] offset:1032         // 00000000B24C: DD348408 00088606
	global_atomic_add_f32 v6, v138, s[8:9] offset:1288         // 00000000B254: DD348508 00088A06
	global_atomic_add_f32 v6, v142, s[8:9] offset:1544         // 00000000B25C: DD348608 00088E06
	global_atomic_add_f32 v6, v146, s[8:9] offset:1800         // 00000000B264: DD348708 00089206
	s_mov_b64 exec, s[36:37]                                   // 00000000B26C: BEFE0124
	v_mov_b32_e32 v6, v38                                      // 00000000B270: 7E0C0326
	s_mov_b64 s[60:61], 0                                      // 00000000B274: BEBC0180
	v_readlane_b32 s82, v3, 2                                  // 00000000B278: D2890052 00010503
	s_and_b32 s82, s82, 0xffffff                               // 00000000B280: 8652FF52 00FFFFFF
	s_cmp_lt_u32 s82, s66                                      // 00000000B288: BF0A4252
	s_cselect_b32 s20, s36, s60                                // 00000000B28C: 85143C24
	v_readlane_b32 s82, v3, 3                                  // 00000000B290: D2890052 00010703
	s_and_b32 s82, s82, 0xffffff                               // 00000000B298: 8652FF52 00FFFFFF
	s_cmp_lt_u32 s82, s66                                      // 00000000B2A0: BF0A4252
	s_cselect_b32 s21, s36, s60                                // 00000000B2A4: 85153C24
	s_mov_b64 exec, s[20:21]                                   // 00000000B2A8: BEFE0114
	global_atomic_add_f32 v6, v119, s[8:9] offset:8            // 00000000B2AC: DD348008 00087706
	global_atomic_add_f32 v6, v123, s[8:9] offset:264          // 00000000B2B4: DD348108 00087B06
	global_atomic_add_f32 v6, v127, s[8:9] offset:520          // 00000000B2BC: DD348208 00087F06
	global_atomic_add_f32 v6, v131, s[8:9] offset:776          // 00000000B2C4: DD348308 00088306
	global_atomic_add_f32 v6, v135, s[8:9] offset:1032         // 00000000B2CC: DD348408 00088706
	global_atomic_add_f32 v6, v139, s[8:9] offset:1288         // 00000000B2D4: DD348508 00088B06
	global_atomic_add_f32 v6, v143, s[8:9] offset:1544         // 00000000B2DC: DD348608 00088F06
	global_atomic_add_f32 v6, v147, s[8:9] offset:1800         // 00000000B2E4: DD348708 00089306
	s_mov_b64 exec, s[36:37]                                   // 00000000B2EC: BEFE0124
	v_mov_b32_e32 v6, v39                                      // 00000000B2F0: 7E0C0327
	s_mov_b64 s[60:61], 0                                      // 00000000B2F4: BEBC0180
	v_readlane_b32 s82, v3, 4                                  // 00000000B2F8: D2890052 00010903
	s_and_b32 s82, s82, 0xffffff                               // 00000000B300: 8652FF52 00FFFFFF
	s_cmp_lt_u32 s82, s66                                      // 00000000B308: BF0A4252
	s_cselect_b32 s20, s36, s60                                // 00000000B30C: 85143C24
	v_readlane_b32 s82, v3, 5                                  // 00000000B310: D2890052 00010B03
	s_and_b32 s82, s82, 0xffffff                               // 00000000B318: 8652FF52 00FFFFFF
	s_cmp_lt_u32 s82, s66                                      // 00000000B320: BF0A4252
	s_cselect_b32 s21, s36, s60                                // 00000000B324: 85153C24
	s_mov_b64 exec, s[20:21]                                   // 00000000B328: BEFE0114
	global_atomic_add_f32 v6, v150, s[8:9] offset:8            // 00000000B32C: DD348008 00089606
	global_atomic_add_f32 v6, v154, s[8:9] offset:264          // 00000000B334: DD348108 00089A06
	global_atomic_add_f32 v6, v158, s[8:9] offset:520          // 00000000B33C: DD348208 00089E06
	global_atomic_add_f32 v6, v162, s[8:9] offset:776          // 00000000B344: DD348308 0008A206
	global_atomic_add_f32 v6, v166, s[8:9] offset:1032         // 00000000B34C: DD348408 0008A606
	global_atomic_add_f32 v6, v170, s[8:9] offset:1288         // 00000000B354: DD348508 0008AA06
	global_atomic_add_f32 v6, v174, s[8:9] offset:1544         // 00000000B35C: DD348608 0008AE06
	global_atomic_add_f32 v6, v178, s[8:9] offset:1800         // 00000000B364: DD348708 0008B206
	s_mov_b64 exec, s[36:37]                                   // 00000000B36C: BEFE0124
	v_mov_b32_e32 v6, v40                                      // 00000000B370: 7E0C0328
	s_mov_b64 s[60:61], 0                                      // 00000000B374: BEBC0180
	v_readlane_b32 s82, v3, 6                                  // 00000000B378: D2890052 00010D03
	s_and_b32 s82, s82, 0xffffff                               // 00000000B380: 8652FF52 00FFFFFF
	s_cmp_lt_u32 s82, s66                                      // 00000000B388: BF0A4252
	s_cselect_b32 s20, s36, s60                                // 00000000B38C: 85143C24
	v_readlane_b32 s82, v3, 7                                  // 00000000B390: D2890052 00010F03
	s_and_b32 s82, s82, 0xffffff                               // 00000000B398: 8652FF52 00FFFFFF
	s_cmp_lt_u32 s82, s66                                      // 00000000B3A0: BF0A4252
	s_cselect_b32 s21, s36, s60                                // 00000000B3A4: 85153C24
	s_mov_b64 exec, s[20:21]                                   // 00000000B3A8: BEFE0114
	global_atomic_add_f32 v6, v151, s[8:9] offset:8            // 00000000B3AC: DD348008 00089706
	global_atomic_add_f32 v6, v155, s[8:9] offset:264          // 00000000B3B4: DD348108 00089B06
	global_atomic_add_f32 v6, v159, s[8:9] offset:520          // 00000000B3BC: DD348208 00089F06
	global_atomic_add_f32 v6, v163, s[8:9] offset:776          // 00000000B3C4: DD348308 0008A306
	global_atomic_add_f32 v6, v167, s[8:9] offset:1032         // 00000000B3CC: DD348408 0008A706
	global_atomic_add_f32 v6, v171, s[8:9] offset:1288         // 00000000B3D4: DD348508 0008AB06
	global_atomic_add_f32 v6, v175, s[8:9] offset:1544         // 00000000B3DC: DD348608 0008AF06
	global_atomic_add_f32 v6, v179, s[8:9] offset:1800         // 00000000B3E4: DD348708 0008B306
	s_mov_b64 exec, s[36:37]                                   // 00000000B3EC: BEFE0124
	s_branch label_2280                                        // 00000000B3F0: BF820000

000000000000b3f4 <label_2280>:
	s_waitcnt vmcnt(0) expcnt(0) lgkmcnt(0)                    // 00000000B3F4: BF8C0000
	s_endpgm                                                   // 00000000B3F8: BF810000
